;; amdgpu-corpus repo=ROCm/rocFFT kind=compiled arch=gfx1030 opt=O3
	.text
	.amdgcn_target "amdgcn-amd-amdhsa--gfx1030"
	.amdhsa_code_object_version 6
	.protected	fft_rtc_fwd_len1122_factors_17_11_6_wgs_204_tpt_102_halfLds_dp_op_CI_CI_sbrr_dirReg ; -- Begin function fft_rtc_fwd_len1122_factors_17_11_6_wgs_204_tpt_102_halfLds_dp_op_CI_CI_sbrr_dirReg
	.globl	fft_rtc_fwd_len1122_factors_17_11_6_wgs_204_tpt_102_halfLds_dp_op_CI_CI_sbrr_dirReg
	.p2align	8
	.type	fft_rtc_fwd_len1122_factors_17_11_6_wgs_204_tpt_102_halfLds_dp_op_CI_CI_sbrr_dirReg,@function
fft_rtc_fwd_len1122_factors_17_11_6_wgs_204_tpt_102_halfLds_dp_op_CI_CI_sbrr_dirReg: ; @fft_rtc_fwd_len1122_factors_17_11_6_wgs_204_tpt_102_halfLds_dp_op_CI_CI_sbrr_dirReg
; %bb.0:
	s_clause 0x2
	s_load_dwordx4 s[16:19], s[4:5], 0x18
	s_load_dwordx4 s[8:11], s[4:5], 0x0
	;; [unrolled: 1-line block ×3, first 2 shown]
	v_mul_u32_u24_e32 v1, 0x283, v0
	v_mov_b32_e32 v3, 0
	s_waitcnt lgkmcnt(0)
	s_load_dwordx2 s[20:21], s[16:17], 0x0
	s_load_dwordx2 s[2:3], s[18:19], 0x0
	v_lshrrev_b32_e32 v122, 16, v1
	v_cmp_lt_u64_e64 s0, s[10:11], 2
	v_mov_b32_e32 v1, 0
	v_mov_b32_e32 v6, v3
	;; [unrolled: 1-line block ×3, first 2 shown]
	v_lshl_add_u32 v5, s6, 1, v122
	s_and_b32 vcc_lo, exec_lo, s0
	s_cbranch_vccnz .LBB0_8
; %bb.1:
	s_load_dwordx2 s[0:1], s[4:5], 0x10
	v_mov_b32_e32 v1, 0
	v_mov_b32_e32 v2, 0
	s_add_u32 s6, s18, 8
	s_addc_u32 s7, s19, 0
	s_add_u32 s22, s16, 8
	s_addc_u32 s23, s17, 0
	v_mov_b32_e32 v95, v2
	v_mov_b32_e32 v94, v1
	s_mov_b64 s[26:27], 1
	s_waitcnt lgkmcnt(0)
	s_add_u32 s24, s0, 8
	s_addc_u32 s25, s1, 0
.LBB0_2:                                ; =>This Inner Loop Header: Depth=1
	s_load_dwordx2 s[28:29], s[24:25], 0x0
                                        ; implicit-def: $vgpr96_vgpr97
	s_mov_b32 s0, exec_lo
	s_waitcnt lgkmcnt(0)
	v_or_b32_e32 v4, s29, v6
	v_cmpx_ne_u64_e32 0, v[3:4]
	s_xor_b32 s1, exec_lo, s0
	s_cbranch_execz .LBB0_4
; %bb.3:                                ;   in Loop: Header=BB0_2 Depth=1
	v_cvt_f32_u32_e32 v4, s28
	v_cvt_f32_u32_e32 v7, s29
	s_sub_u32 s0, 0, s28
	s_subb_u32 s30, 0, s29
	v_fmac_f32_e32 v4, 0x4f800000, v7
	v_rcp_f32_e32 v4, v4
	v_mul_f32_e32 v4, 0x5f7ffffc, v4
	v_mul_f32_e32 v7, 0x2f800000, v4
	v_trunc_f32_e32 v7, v7
	v_fmac_f32_e32 v4, 0xcf800000, v7
	v_cvt_u32_f32_e32 v7, v7
	v_cvt_u32_f32_e32 v4, v4
	v_mul_lo_u32 v8, s0, v7
	v_mul_hi_u32 v9, s0, v4
	v_mul_lo_u32 v10, s30, v4
	v_add_nc_u32_e32 v8, v9, v8
	v_mul_lo_u32 v9, s0, v4
	v_add_nc_u32_e32 v8, v8, v10
	v_mul_hi_u32 v10, v4, v9
	v_mul_lo_u32 v11, v4, v8
	v_mul_hi_u32 v12, v4, v8
	v_mul_hi_u32 v13, v7, v9
	v_mul_lo_u32 v9, v7, v9
	v_mul_hi_u32 v14, v7, v8
	v_mul_lo_u32 v8, v7, v8
	v_add_co_u32 v10, vcc_lo, v10, v11
	v_add_co_ci_u32_e32 v11, vcc_lo, 0, v12, vcc_lo
	v_add_co_u32 v9, vcc_lo, v10, v9
	v_add_co_ci_u32_e32 v9, vcc_lo, v11, v13, vcc_lo
	v_add_co_ci_u32_e32 v10, vcc_lo, 0, v14, vcc_lo
	v_add_co_u32 v8, vcc_lo, v9, v8
	v_add_co_ci_u32_e32 v9, vcc_lo, 0, v10, vcc_lo
	v_add_co_u32 v4, vcc_lo, v4, v8
	v_add_co_ci_u32_e32 v7, vcc_lo, v7, v9, vcc_lo
	v_mul_hi_u32 v8, s0, v4
	v_mul_lo_u32 v10, s30, v4
	v_mul_lo_u32 v9, s0, v7
	v_add_nc_u32_e32 v8, v8, v9
	v_mul_lo_u32 v9, s0, v4
	v_add_nc_u32_e32 v8, v8, v10
	v_mul_hi_u32 v10, v4, v9
	v_mul_lo_u32 v11, v4, v8
	v_mul_hi_u32 v12, v4, v8
	v_mul_hi_u32 v13, v7, v9
	v_mul_lo_u32 v9, v7, v9
	v_mul_hi_u32 v14, v7, v8
	v_mul_lo_u32 v8, v7, v8
	v_add_co_u32 v10, vcc_lo, v10, v11
	v_add_co_ci_u32_e32 v11, vcc_lo, 0, v12, vcc_lo
	v_add_co_u32 v9, vcc_lo, v10, v9
	v_add_co_ci_u32_e32 v9, vcc_lo, v11, v13, vcc_lo
	v_add_co_ci_u32_e32 v10, vcc_lo, 0, v14, vcc_lo
	v_add_co_u32 v8, vcc_lo, v9, v8
	v_add_co_ci_u32_e32 v9, vcc_lo, 0, v10, vcc_lo
	v_add_co_u32 v4, vcc_lo, v4, v8
	v_add_co_ci_u32_e32 v11, vcc_lo, v7, v9, vcc_lo
	v_mul_hi_u32 v13, v5, v4
	v_mad_u64_u32 v[9:10], null, v6, v4, 0
	v_mad_u64_u32 v[7:8], null, v5, v11, 0
	;; [unrolled: 1-line block ×3, first 2 shown]
	v_add_co_u32 v4, vcc_lo, v13, v7
	v_add_co_ci_u32_e32 v7, vcc_lo, 0, v8, vcc_lo
	v_add_co_u32 v4, vcc_lo, v4, v9
	v_add_co_ci_u32_e32 v4, vcc_lo, v7, v10, vcc_lo
	v_add_co_ci_u32_e32 v7, vcc_lo, 0, v12, vcc_lo
	v_add_co_u32 v4, vcc_lo, v4, v11
	v_add_co_ci_u32_e32 v9, vcc_lo, 0, v7, vcc_lo
	v_mul_lo_u32 v10, s29, v4
	v_mad_u64_u32 v[7:8], null, s28, v4, 0
	v_mul_lo_u32 v11, s28, v9
	v_sub_co_u32 v7, vcc_lo, v5, v7
	v_add3_u32 v8, v8, v11, v10
	v_sub_nc_u32_e32 v10, v6, v8
	v_subrev_co_ci_u32_e64 v10, s0, s29, v10, vcc_lo
	v_add_co_u32 v11, s0, v4, 2
	v_add_co_ci_u32_e64 v12, s0, 0, v9, s0
	v_sub_co_u32 v13, s0, v7, s28
	v_sub_co_ci_u32_e32 v8, vcc_lo, v6, v8, vcc_lo
	v_subrev_co_ci_u32_e64 v10, s0, 0, v10, s0
	v_cmp_le_u32_e32 vcc_lo, s28, v13
	v_cmp_eq_u32_e64 s0, s29, v8
	v_cndmask_b32_e64 v13, 0, -1, vcc_lo
	v_cmp_le_u32_e32 vcc_lo, s29, v10
	v_cndmask_b32_e64 v14, 0, -1, vcc_lo
	v_cmp_le_u32_e32 vcc_lo, s28, v7
	v_cndmask_b32_e64 v7, 0, -1, vcc_lo
	v_cmp_le_u32_e32 vcc_lo, s29, v8
	v_cndmask_b32_e64 v15, 0, -1, vcc_lo
	v_cmp_eq_u32_e32 vcc_lo, s29, v10
	v_cndmask_b32_e64 v7, v15, v7, s0
	v_cndmask_b32_e32 v10, v14, v13, vcc_lo
	v_add_co_u32 v13, vcc_lo, v4, 1
	v_add_co_ci_u32_e32 v14, vcc_lo, 0, v9, vcc_lo
	v_cmp_ne_u32_e32 vcc_lo, 0, v10
	v_cndmask_b32_e32 v8, v14, v12, vcc_lo
	v_cndmask_b32_e32 v10, v13, v11, vcc_lo
	v_cmp_ne_u32_e32 vcc_lo, 0, v7
	v_cndmask_b32_e32 v97, v9, v8, vcc_lo
	v_cndmask_b32_e32 v96, v4, v10, vcc_lo
.LBB0_4:                                ;   in Loop: Header=BB0_2 Depth=1
	s_andn2_saveexec_b32 s0, s1
	s_cbranch_execz .LBB0_6
; %bb.5:                                ;   in Loop: Header=BB0_2 Depth=1
	v_cvt_f32_u32_e32 v4, s28
	s_sub_i32 s1, 0, s28
	v_mov_b32_e32 v97, v3
	v_rcp_iflag_f32_e32 v4, v4
	v_mul_f32_e32 v4, 0x4f7ffffe, v4
	v_cvt_u32_f32_e32 v4, v4
	v_mul_lo_u32 v7, s1, v4
	v_mul_hi_u32 v7, v4, v7
	v_add_nc_u32_e32 v4, v4, v7
	v_mul_hi_u32 v4, v5, v4
	v_mul_lo_u32 v7, v4, s28
	v_add_nc_u32_e32 v8, 1, v4
	v_sub_nc_u32_e32 v7, v5, v7
	v_subrev_nc_u32_e32 v9, s28, v7
	v_cmp_le_u32_e32 vcc_lo, s28, v7
	v_cndmask_b32_e32 v7, v7, v9, vcc_lo
	v_cndmask_b32_e32 v4, v4, v8, vcc_lo
	v_cmp_le_u32_e32 vcc_lo, s28, v7
	v_add_nc_u32_e32 v8, 1, v4
	v_cndmask_b32_e32 v96, v4, v8, vcc_lo
.LBB0_6:                                ;   in Loop: Header=BB0_2 Depth=1
	s_or_b32 exec_lo, exec_lo, s0
	v_mul_lo_u32 v4, v97, s28
	v_mul_lo_u32 v9, v96, s29
	s_load_dwordx2 s[0:1], s[22:23], 0x0
	v_mad_u64_u32 v[7:8], null, v96, s28, 0
	s_load_dwordx2 s[28:29], s[6:7], 0x0
	s_add_u32 s26, s26, 1
	s_addc_u32 s27, s27, 0
	s_add_u32 s6, s6, 8
	s_addc_u32 s7, s7, 0
	s_add_u32 s22, s22, 8
	v_add3_u32 v4, v8, v9, v4
	v_sub_co_u32 v5, vcc_lo, v5, v7
	s_addc_u32 s23, s23, 0
	s_add_u32 s24, s24, 8
	v_sub_co_ci_u32_e32 v4, vcc_lo, v6, v4, vcc_lo
	s_addc_u32 s25, s25, 0
	s_waitcnt lgkmcnt(0)
	v_mul_lo_u32 v6, s0, v4
	v_mul_lo_u32 v7, s1, v5
	v_mad_u64_u32 v[1:2], null, s0, v5, v[1:2]
	v_mul_lo_u32 v4, s28, v4
	v_mul_lo_u32 v8, s29, v5
	v_mad_u64_u32 v[94:95], null, s28, v5, v[94:95]
	v_cmp_ge_u64_e64 s0, s[26:27], s[10:11]
	v_add3_u32 v2, v7, v2, v6
	v_add3_u32 v95, v8, v95, v4
	s_and_b32 vcc_lo, exec_lo, s0
	s_cbranch_vccnz .LBB0_9
; %bb.7:                                ;   in Loop: Header=BB0_2 Depth=1
	v_mov_b32_e32 v5, v96
	v_mov_b32_e32 v6, v97
	s_branch .LBB0_2
.LBB0_8:
	v_mov_b32_e32 v95, v2
	v_mov_b32_e32 v97, v6
	;; [unrolled: 1-line block ×4, first 2 shown]
.LBB0_9:
	s_load_dwordx2 s[0:1], s[4:5], 0x28
	v_mul_hi_u32 v3, 0x2828283, v0
	s_lshl_b64 s[6:7], s[10:11], 3
                                        ; implicit-def: $vgpr12_vgpr13
                                        ; implicit-def: $vgpr16_vgpr17
                                        ; implicit-def: $vgpr20_vgpr21
                                        ; implicit-def: $vgpr24_vgpr25
                                        ; implicit-def: $vgpr28_vgpr29
                                        ; implicit-def: $vgpr32_vgpr33
                                        ; implicit-def: $vgpr36_vgpr37
                                        ; implicit-def: $vgpr40_vgpr41
                                        ; implicit-def: $vgpr44_vgpr45
                                        ; implicit-def: $vgpr48_vgpr49
                                        ; implicit-def: $vgpr52_vgpr53
                                        ; implicit-def: $vgpr56_vgpr57
                                        ; implicit-def: $vgpr60_vgpr61
                                        ; implicit-def: $vgpr64_vgpr65
                                        ; implicit-def: $vgpr68_vgpr69
                                        ; implicit-def: $vgpr72_vgpr73
                                        ; implicit-def: $vgpr8_vgpr9
	s_add_u32 s4, s18, s6
	s_addc_u32 s5, s19, s7
	v_mul_u32_u24_e32 v3, 0x66, v3
	v_sub_nc_u32_e32 v128, v0, v3
	s_waitcnt lgkmcnt(0)
	v_cmp_gt_u64_e32 vcc_lo, s[0:1], v[96:97]
	v_cmp_gt_u32_e64 s0, 0x42, v128
	s_and_b32 s1, vcc_lo, s0
	s_and_saveexec_b32 s10, s1
	s_cbranch_execz .LBB0_11
; %bb.10:
	s_add_u32 s6, s16, s6
	s_addc_u32 s7, s17, s7
	v_mad_u64_u32 v[3:4], null, s20, v128, 0
	s_load_dwordx2 s[6:7], s[6:7], 0x0
	v_add_nc_u32_e32 v16, 0x42, v128
	v_add_nc_u32_e32 v18, 0x84, v128
	v_lshlrev_b64 v[0:1], 4, v[1:2]
	v_add_nc_u32_e32 v19, 0xc6, v128
	v_add_nc_u32_e32 v20, 0x108, v128
	v_mad_u64_u32 v[5:6], null, s20, v16, 0
	v_mad_u64_u32 v[7:8], null, s20, v18, 0
	v_mov_b32_e32 v2, v4
	v_mad_u64_u32 v[9:10], null, s20, v19, 0
	v_add_nc_u32_e32 v23, 0x294, v128
	v_add_nc_u32_e32 v25, 0x2d6, v128
	v_mad_u64_u32 v[13:14], null, s21, v128, v[2:3]
	v_mov_b32_e32 v2, v6
	v_mov_b32_e32 v6, v8
	;; [unrolled: 1-line block ×3, first 2 shown]
	s_waitcnt lgkmcnt(0)
	v_mul_lo_u32 v4, s7, v96
	v_mul_lo_u32 v17, s6, v97
	v_mad_u64_u32 v[11:12], null, s6, v96, 0
	v_mad_u64_u32 v[14:15], null, s20, v20, 0
	;; [unrolled: 1-line block ×3, first 2 shown]
	v_add_nc_u32_e32 v27, 0x318, v128
	v_add_nc_u32_e32 v29, 0x35a, v128
	v_add3_u32 v12, v12, v17, v4
	v_mad_u64_u32 v[16:17], null, s21, v16, v[2:3]
	v_mad_u64_u32 v[17:18], null, s21, v18, v[6:7]
	v_lshlrev_b64 v[10:11], 4, v[11:12]
	v_mov_b32_e32 v4, v13
	v_mad_u64_u32 v[12:13], null, s21, v19, v[8:9]
	v_mov_b32_e32 v6, v16
	v_add_nc_u32_e32 v18, 0x14a, v128
	v_lshlrev_b64 v[2:3], 4, v[3:4]
	v_add_co_u32 v4, s1, s12, v10
	v_add_co_ci_u32_e64 v10, s1, s13, v11, s1
	v_mov_b32_e32 v8, v17
	v_add_co_u32 v33, s1, v4, v0
	v_add_co_ci_u32_e64 v34, s1, v10, v1, s1
	v_lshlrev_b64 v[0:1], 4, v[5:6]
	v_lshlrev_b64 v[5:6], 4, v[7:8]
	v_mov_b32_e32 v10, v12
	v_mov_b32_e32 v4, v15
	v_add_co_u32 v2, s1, v33, v2
	v_add_co_ci_u32_e64 v3, s1, v34, v3, s1
	v_lshlrev_b64 v[7:8], 4, v[9:10]
	v_mad_u64_u32 v[9:10], null, s21, v20, v[4:5]
	v_mad_u64_u32 v[10:11], null, s20, v18, 0
	v_add_co_u32 v0, s1, v33, v0
	v_add_co_ci_u32_e64 v1, s1, v34, v1, s1
	v_add_co_u32 v4, s1, v33, v5
	v_add_co_ci_u32_e64 v5, s1, v34, v6, s1
	v_mov_b32_e32 v6, v11
	v_add_co_u32 v12, s1, v33, v7
	v_add_co_ci_u32_e64 v13, s1, v34, v8, s1
	v_mov_b32_e32 v15, v9
	v_mad_u64_u32 v[18:19], null, s21, v18, v[6:7]
	s_clause 0x3
	global_load_dwordx4 v[6:9], v[2:3], off
	global_load_dwordx4 v[70:73], v[0:1], off
	;; [unrolled: 1-line block ×4, first 2 shown]
	v_add_nc_u32_e32 v20, 0x18c, v128
	v_add_nc_u32_e32 v5, 0x1ce, v128
	v_lshlrev_b64 v[0:1], 4, v[14:15]
	v_add_nc_u32_e32 v30, 0x39c, v128
	v_add_nc_u32_e32 v35, 0x3de, v128
	v_mad_u64_u32 v[16:17], null, s20, v20, 0
	v_mad_u64_u32 v[3:4], null, s20, v5, 0
	v_mov_b32_e32 v11, v18
	v_add_nc_u32_e32 v18, 0x210, v128
	v_add_co_u32 v0, s1, v33, v0
	v_mov_b32_e32 v2, v17
	v_lshlrev_b64 v[10:11], 4, v[10:11]
	v_add_co_ci_u32_e64 v1, s1, v34, v1, s1
	v_mad_u64_u32 v[12:13], null, s21, v20, v[2:3]
	v_mad_u64_u32 v[13:14], null, s20, v18, 0
	v_mov_b32_e32 v2, v4
	v_add_co_u32 v10, s1, v33, v10
	v_add_co_ci_u32_e64 v11, s1, v34, v11, s1
	v_mov_b32_e32 v17, v12
	v_mad_u64_u32 v[4:5], null, s21, v5, v[2:3]
	v_mov_b32_e32 v2, v14
	v_add_nc_u32_e32 v5, 0x252, v128
	v_lshlrev_b64 v[14:15], 4, v[16:17]
	s_clause 0x1
	global_load_dwordx4 v[58:61], v[0:1], off
	global_load_dwordx4 v[54:57], v[10:11], off
	v_mad_u64_u32 v[16:17], null, s21, v18, v[2:3]
	v_mad_u64_u32 v[17:18], null, s20, v5, 0
	v_add_co_u32 v19, s1, v33, v14
	v_add_co_ci_u32_e64 v20, s1, v34, v15, s1
	v_lshlrev_b64 v[2:3], 4, v[3:4]
	v_mov_b32_e32 v14, v16
	v_mov_b32_e32 v4, v18
	v_mad_u64_u32 v[15:16], null, s20, v23, 0
	v_lshlrev_b64 v[12:13], 4, v[13:14]
	v_mad_u64_u32 v[4:5], null, s21, v5, v[4:5]
	v_add_co_u32 v2, s1, v33, v2
	v_mov_b32_e32 v5, v16
	v_add_co_ci_u32_e64 v3, s1, v34, v3, s1
	v_add_co_u32 v12, s1, v33, v12
	v_mov_b32_e32 v18, v4
	v_add_co_ci_u32_e64 v13, s1, v34, v13, s1
	s_clause 0x1
	global_load_dwordx4 v[50:53], v[19:20], off
	global_load_dwordx4 v[46:49], v[2:3], off
	v_lshlrev_b64 v[17:18], 4, v[17:18]
	v_add_co_u32 v17, s1, v33, v17
	v_add_co_ci_u32_e64 v18, s1, v34, v18, s1
	s_clause 0x1
	global_load_dwordx4 v[42:45], v[12:13], off
	global_load_dwordx4 v[38:41], v[17:18], off
	s_waitcnt vmcnt(9)
	v_mad_u64_u32 v[4:5], null, s21, v23, v[5:6]
	v_mov_b32_e32 v5, v22
	v_mad_u64_u32 v[23:24], null, s20, v27, 0
	v_mad_u64_u32 v[25:26], null, s21, v25, v[5:6]
	v_mov_b32_e32 v16, v4
	v_mov_b32_e32 v4, v24
	v_lshlrev_b64 v[14:15], 4, v[15:16]
	v_mov_b32_e32 v22, v25
	v_mad_u64_u32 v[4:5], null, s21, v27, v[4:5]
	v_mad_u64_u32 v[25:26], null, s20, v29, 0
	v_lshlrev_b64 v[21:22], 4, v[21:22]
	v_mad_u64_u32 v[27:28], null, s20, v30, 0
	v_add_co_u32 v14, s1, v33, v14
	v_mov_b32_e32 v24, v4
	v_add_co_ci_u32_e64 v15, s1, v34, v15, s1
	v_add_co_u32 v4, s1, v33, v21
	v_mov_b32_e32 v16, v26
	v_add_co_ci_u32_e64 v5, s1, v34, v22, s1
	v_lshlrev_b64 v[21:22], 4, v[23:24]
	v_mov_b32_e32 v23, v28
	v_mad_u64_u32 v[28:29], null, s21, v29, v[16:17]
	v_mad_u64_u32 v[23:24], null, s21, v30, v[23:24]
	;; [unrolled: 1-line block ×3, first 2 shown]
	v_add_nc_u32_e32 v24, 0x420, v128
	v_mov_b32_e32 v26, v28
	v_add_co_u32 v21, s1, v33, v21
	v_mov_b32_e32 v28, v23
	v_mad_u64_u32 v[31:32], null, s20, v24, 0
	v_mov_b32_e32 v16, v30
	v_lshlrev_b64 v[2:3], 4, v[25:26]
	v_lshlrev_b64 v[19:20], 4, v[27:28]
	v_add_co_ci_u32_e64 v22, s1, v34, v22, s1
	v_mad_u64_u32 v[0:1], null, s21, v35, v[16:17]
	v_mov_b32_e32 v1, v32
	v_mad_u64_u32 v[10:11], null, s21, v24, v[1:2]
	v_mov_b32_e32 v30, v0
	v_add_co_u32 v0, s1, v33, v2
	v_add_co_ci_u32_e64 v1, s1, v34, v3, s1
	v_lshlrev_b64 v[2:3], 4, v[29:30]
	v_mov_b32_e32 v32, v10
	v_add_co_u32 v10, s1, v33, v19
	v_add_co_ci_u32_e64 v11, s1, v34, v20, s1
	v_lshlrev_b64 v[19:20], 4, v[31:32]
	v_add_co_u32 v2, s1, v33, v2
	v_add_co_ci_u32_e64 v3, s1, v34, v3, s1
	v_add_co_u32 v12, s1, v33, v19
	v_add_co_ci_u32_e64 v13, s1, v34, v20, s1
	s_clause 0x6
	global_load_dwordx4 v[34:37], v[14:15], off
	global_load_dwordx4 v[30:33], v[4:5], off
	;; [unrolled: 1-line block ×7, first 2 shown]
.LBB0_11:
	s_or_b32 exec_lo, exec_lo, s10
	s_waitcnt vmcnt(0)
	v_add_f64 v[0:1], v[10:11], v[70:71]
	s_mov_b32 s12, 0x6ed5f1bb
	s_mov_b32 s13, 0xbfe348c8
	v_add_f64 v[86:87], v[72:73], -v[12:13]
	v_add_f64 v[76:77], v[14:15], v[66:67]
	s_mov_b32 s26, 0x6c9a05f6
	s_mov_b32 s16, 0xc61f0d01
	s_mov_b32 s27, 0xbfe9895b
	s_mov_b32 s17, 0xbfd183b1
	v_add_f64 v[104:105], v[68:69], -v[16:17]
	v_add_f64 v[4:5], v[18:19], v[62:63]
	s_mov_b32 s28, 0x923c349f
	s_mov_b32 s18, 0x370991
	;; [unrolled: 6-line block ×3, first 2 shown]
	s_mov_b32 s31, 0xbfd71e95
	s_mov_b32 s21, 0xbfeb34fa
	v_add_f64 v[92:93], v[60:61], -v[24:25]
	v_mul_f64 v[106:107], v[0:1], s[12:13]
	v_add_f64 v[78:79], v[26:27], v[54:55]
	s_mov_b32 s34, 0x4363dd80
	s_mov_b32 s22, 0x3259b75e
	v_mul_f64 v[112:113], v[76:77], s[16:17]
	s_mov_b32 s35, 0xbfe0d888
	s_mov_b32 s23, 0x3fb79ee6
	v_add_f64 v[98:99], v[56:57], -v[28:29]
	s_mov_b32 s36, 0xeb564b22
	s_mov_b32 s24, 0x75d4884
	v_mul_f64 v[108:109], v[4:5], s[18:19]
	s_mov_b32 s37, 0x3fefdd0d
	s_mov_b32 s25, 0x3fe7a5f6
	v_add_f64 v[100:101], v[52:53], -v[32:33]
	;; [unrolled: 6-line block ×3, first 2 shown]
	s_mov_b32 s40, 0xacd6c6b4
	s_mov_b32 s10, 0x2b2883cd
	v_fma_f64 v[2:3], v[86:87], s[26:27], v[106:107]
	v_mul_f64 v[116:117], v[78:79], s[22:23]
	s_mov_b32 s41, 0xbfc7851a
	s_mov_b32 s11, 0x3fdc86fa
	v_fma_f64 v[80:81], v[104:105], s[28:29], v[112:113]
	s_mov_b32 s42, 0x7c9e640b
	s_mov_b32 s43, 0x3feca52d
	v_and_b32_e32 v122, 1, v122
	v_fma_f64 v[82:83], v[90:91], s[30:31], v[108:109]
	v_cmp_eq_u32_e64 s1, 1, v122
	v_fma_f64 v[84:85], v[92:93], s[34:35], v[110:111]
	v_cndmask_b32_e64 v122, 0, 0x462, s1
	v_lshlrev_b32_e32 v129, 3, v122
	v_add_f64 v[2:3], v[6:7], v[2:3]
	v_fma_f64 v[88:89], v[98:99], s[36:37], v[116:117]
	v_add_f64 v[2:3], v[80:81], v[2:3]
	v_add_f64 v[80:81], v[30:31], v[50:51]
	;; [unrolled: 1-line block ×4, first 2 shown]
	v_mul_f64 v[114:115], v[80:81], s[24:25]
	v_add_f64 v[2:3], v[84:85], v[2:3]
	v_mul_f64 v[118:119], v[82:83], s[6:7]
	v_fma_f64 v[120:121], v[100:101], s[38:39], v[114:115]
	v_add_f64 v[84:85], v[38:39], v[42:43]
	v_add_f64 v[2:3], v[88:89], v[2:3]
	v_add_f64 v[88:89], v[44:45], -v[40:41]
	v_fma_f64 v[123:124], v[102:103], s[40:41], v[118:119]
	v_add_f64 v[2:3], v[120:121], v[2:3]
	v_mul_f64 v[120:121], v[84:85], s[10:11]
	v_add_f64 v[2:3], v[123:124], v[2:3]
	v_fma_f64 v[123:124], v[88:89], s[42:43], v[120:121]
	v_add_f64 v[2:3], v[123:124], v[2:3]
	s_and_saveexec_b32 s1, s0
	s_cbranch_execz .LBB0_13
; %bb.12:
	s_mov_b32 s47, 0xbfeec746
	s_mov_b32 s46, s28
	v_add_f64 v[138:139], v[70:71], v[6:7]
	v_mul_f64 v[136:137], v[86:87], s[46:47]
	v_mul_f64 v[130:131], v[86:87], s[40:41]
	;; [unrolled: 1-line block ×4, first 2 shown]
	s_mov_b32 s51, 0xbfefdd0d
	s_mov_b32 s50, s36
	;; [unrolled: 1-line block ×4, first 2 shown]
	v_mul_f64 v[142:143], v[86:87], s[50:51]
	v_mul_f64 v[156:157], v[104:105], s[54:55]
	s_mov_b32 s45, 0x3fd71e95
	s_mov_b32 s44, s30
	v_mul_f64 v[140:141], v[104:105], s[42:43]
	v_mul_f64 v[144:145], v[104:105], s[44:45]
	;; [unrolled: 1-line block ×3, first 2 shown]
	s_mov_b32 s49, 0x3fe58eea
	s_mov_b32 s48, s38
	v_mul_f64 v[152:153], v[104:105], s[40:41]
	v_mul_f64 v[126:127], v[90:91], s[30:31]
	;; [unrolled: 1-line block ×4, first 2 shown]
	v_add_f64 v[138:139], v[66:67], v[138:139]
	v_fma_f64 v[158:159], v[0:1], s[16:17], v[136:137]
	v_fma_f64 v[148:149], v[0:1], s[6:7], v[130:131]
	v_fma_f64 v[130:131], v[0:1], s[6:7], -v[130:131]
	v_fma_f64 v[150:151], v[0:1], s[20:21], v[132:133]
	v_fma_f64 v[132:133], v[0:1], s[20:21], -v[132:133]
	v_add_f64 v[106:107], v[106:107], -v[134:135]
	v_fma_f64 v[136:137], v[0:1], s[16:17], -v[136:137]
	v_mul_f64 v[160:161], v[90:91], s[50:51]
	v_fma_f64 v[164:165], v[0:1], s[22:23], v[142:143]
	v_fma_f64 v[170:171], v[76:77], s[20:21], v[156:157]
	v_fma_f64 v[142:143], v[0:1], s[22:23], -v[142:143]
	v_fma_f64 v[156:157], v[76:77], s[20:21], -v[156:157]
	v_fma_f64 v[162:163], v[76:77], s[10:11], v[140:141]
	v_fma_f64 v[140:141], v[76:77], s[10:11], -v[140:141]
	v_fma_f64 v[166:167], v[76:77], s[18:19], v[144:145]
	v_fma_f64 v[144:145], v[76:77], s[18:19], -v[144:145]
	v_add_f64 v[112:113], v[112:113], -v[146:147]
	v_mul_f64 v[134:135], v[90:91], s[28:29]
	v_fma_f64 v[146:147], v[76:77], s[6:7], v[152:153]
	v_mul_f64 v[124:125], v[92:93], s[34:35]
	v_add_f64 v[108:109], v[108:109], -v[126:127]
	v_add_f64 v[138:139], v[62:63], v[138:139]
	v_add_f64 v[158:159], v[6:7], v[158:159]
	v_add_f64 v[148:149], v[6:7], v[148:149]
	v_add_f64 v[130:131], v[6:7], v[130:131]
	v_add_f64 v[150:151], v[6:7], v[150:151]
	v_add_f64 v[132:133], v[6:7], v[132:133]
	v_add_f64 v[106:107], v[6:7], v[106:107]
	v_add_f64 v[136:137], v[6:7], v[136:137]
	v_fma_f64 v[126:127], v[4:5], s[24:25], v[168:169]
	v_add_f64 v[164:165], v[6:7], v[164:165]
	s_mov_b32 s53, 0x3fe9895b
	s_mov_b32 s52, s26
	;; [unrolled: 1-line block ×4, first 2 shown]
	v_fma_f64 v[152:153], v[76:77], s[6:7], -v[152:153]
	v_fma_f64 v[172:173], v[4:5], s[20:21], v[154:155]
	v_fma_f64 v[154:155], v[4:5], s[20:21], -v[154:155]
	v_fma_f64 v[174:175], v[4:5], s[22:23], v[160:161]
	v_fma_f64 v[160:161], v[4:5], s[22:23], -v[160:161]
	v_add_f64 v[142:143], v[6:7], v[142:143]
	v_add_f64 v[110:111], v[110:111], -v[124:125]
	v_mul_f64 v[122:123], v[88:89], s[42:43]
	v_add_f64 v[138:139], v[58:59], v[138:139]
	v_add_f64 v[158:159], v[170:171], v[158:159]
	;; [unrolled: 1-line block ×6, first 2 shown]
	v_mul_f64 v[140:141], v[92:93], s[48:49]
	v_mul_f64 v[150:151], v[92:93], s[52:53]
	v_add_f64 v[106:107], v[112:113], v[106:107]
	v_fma_f64 v[112:113], v[4:5], s[24:25], -v[168:169]
	v_add_f64 v[136:137], v[156:157], v[136:137]
	v_mul_f64 v[156:157], v[92:93], s[56:57]
	v_fma_f64 v[166:167], v[4:5], s[16:17], v[134:135]
	v_add_f64 v[146:147], v[146:147], v[164:165]
	v_mul_f64 v[164:165], v[92:93], s[44:45]
	v_mul_f64 v[162:163], v[98:99], s[36:37]
	v_fma_f64 v[134:135], v[4:5], s[16:17], -v[134:135]
	v_mul_f64 v[168:169], v[98:99], s[56:57]
	s_mov_b32 s59, 0x3fc7851a
	v_add_f64 v[142:143], v[152:153], v[142:143]
	s_mov_b32 s58, s40
	v_add_f64 v[120:121], v[120:121], -v[122:123]
	v_mul_f64 v[122:123], v[100:101], s[42:43]
	v_add_f64 v[124:125], v[126:127], v[158:159]
	v_add_f64 v[126:127], v[54:55], v[138:139]
	;; [unrolled: 1-line block ×6, first 2 shown]
	v_fma_f64 v[152:153], v[74:75], s[24:25], v[140:141]
	v_fma_f64 v[140:141], v[74:75], s[24:25], -v[140:141]
	v_fma_f64 v[154:155], v[74:75], s[12:13], v[150:151]
	v_fma_f64 v[150:151], v[74:75], s[12:13], -v[150:151]
	v_mul_f64 v[160:161], v[98:99], s[26:27]
	v_add_f64 v[106:107], v[108:109], v[106:107]
	v_mul_f64 v[108:109], v[98:99], s[30:31]
	v_add_f64 v[112:113], v[112:113], v[136:137]
	v_fma_f64 v[136:137], v[74:75], s[10:11], v[156:157]
	v_mul_f64 v[138:139], v[98:99], s[40:41]
	v_fma_f64 v[156:157], v[74:75], s[10:11], -v[156:157]
	v_add_f64 v[146:147], v[166:167], v[146:147]
	v_fma_f64 v[158:159], v[74:75], s[18:19], v[164:165]
	v_add_f64 v[116:117], v[116:117], -v[162:163]
	v_add_f64 v[134:135], v[134:135], v[142:143]
	v_fma_f64 v[142:143], v[74:75], s[18:19], -v[164:165]
	v_mul_f64 v[170:171], v[100:101], s[38:39]
	v_add_f64 v[126:127], v[50:51], v[126:127]
	v_mul_f64 v[162:163], v[90:91], s[26:27]
	v_mul_f64 v[166:167], v[102:103], s[40:41]
	v_add_f64 v[148:149], v[152:153], v[148:149]
	v_add_f64 v[130:131], v[140:141], v[130:131]
	;; [unrolled: 1-line block ×4, first 2 shown]
	v_fma_f64 v[144:145], v[78:79], s[12:13], v[160:161]
	v_mul_f64 v[150:151], v[86:87], s[56:57]
	v_fma_f64 v[154:155], v[78:79], s[18:19], v[108:109]
	v_fma_f64 v[108:109], v[78:79], s[18:19], -v[108:109]
	v_add_f64 v[106:107], v[110:111], v[106:107]
	v_add_f64 v[110:111], v[136:137], v[124:125]
	v_fma_f64 v[124:125], v[78:79], s[6:7], v[138:139]
	v_mul_f64 v[136:137], v[86:87], s[38:39]
	v_fma_f64 v[152:153], v[78:79], s[12:13], -v[160:161]
	v_add_f64 v[112:113], v[156:157], v[112:113]
	v_add_f64 v[146:147], v[158:159], v[146:147]
	v_fma_f64 v[138:139], v[78:79], s[6:7], -v[138:139]
	v_fma_f64 v[156:157], v[78:79], s[10:11], v[168:169]
	v_mul_f64 v[86:87], v[86:87], s[30:31]
	v_add_f64 v[126:127], v[46:47], v[126:127]
	v_add_f64 v[134:135], v[142:143], v[134:135]
	v_fma_f64 v[142:143], v[78:79], s[10:11], -v[168:169]
	v_mul_f64 v[158:159], v[100:101], s[40:41]
	v_add_f64 v[114:115], v[114:115], -v[170:171]
	v_add_f64 v[118:119], v[118:119], -v[166:167]
	v_add_f64 v[144:145], v[144:145], v[148:149]
	v_fma_f64 v[148:149], v[0:1], s[10:11], v[150:151]
	v_add_f64 v[140:141], v[154:155], v[140:141]
	v_add_f64 v[108:109], v[108:109], v[132:133]
	v_mul_f64 v[132:133], v[104:105], s[26:27]
	v_add_f64 v[106:107], v[116:117], v[106:107]
	v_add_f64 v[110:111], v[124:125], v[110:111]
	v_fma_f64 v[116:117], v[0:1], s[10:11], -v[150:151]
	v_fma_f64 v[124:125], v[0:1], s[24:25], v[136:137]
	v_mul_f64 v[150:151], v[104:105], s[50:51]
	v_fma_f64 v[136:137], v[0:1], s[24:25], -v[136:137]
	v_add_f64 v[130:131], v[152:153], v[130:131]
	v_add_f64 v[112:113], v[138:139], v[112:113]
	;; [unrolled: 1-line block ×3, first 2 shown]
	v_fma_f64 v[146:147], v[80:81], s[10:11], v[122:123]
	v_fma_f64 v[152:153], v[0:1], s[18:19], v[86:87]
	v_mul_f64 v[104:105], v[104:105], s[38:39]
	v_fma_f64 v[0:1], v[0:1], s[18:19], -v[86:87]
	v_add_f64 v[86:87], v[42:43], v[126:127]
	v_add_f64 v[134:135], v[142:143], v[134:135]
	v_fma_f64 v[122:123], v[80:81], s[10:11], -v[122:123]
	v_fma_f64 v[142:143], v[80:81], s[6:7], v[158:159]
	v_fma_f64 v[154:155], v[80:81], s[6:7], -v[158:159]
	v_mul_f64 v[156:157], v[100:101], s[36:37]
	v_add_f64 v[148:149], v[6:7], v[148:149]
	v_mul_f64 v[158:159], v[90:91], s[58:59]
	v_fma_f64 v[126:127], v[76:77], s[12:13], v[132:133]
	v_fma_f64 v[132:133], v[76:77], s[12:13], -v[132:133]
	v_mul_f64 v[90:91], v[90:91], s[56:57]
	v_add_f64 v[116:117], v[6:7], v[116:117]
	v_add_f64 v[124:125], v[6:7], v[124:125]
	v_fma_f64 v[160:161], v[76:77], s[22:23], v[150:151]
	v_fma_f64 v[150:151], v[76:77], s[22:23], -v[150:151]
	v_add_f64 v[136:137], v[6:7], v[136:137]
	v_add_f64 v[106:107], v[114:115], v[106:107]
	;; [unrolled: 1-line block ×4, first 2 shown]
	v_fma_f64 v[152:153], v[76:77], s[24:25], v[104:105]
	v_fma_f64 v[76:77], v[76:77], s[24:25], -v[104:105]
	v_add_f64 v[0:1], v[6:7], v[0:1]
	v_add_f64 v[6:7], v[38:39], v[86:87]
	;; [unrolled: 1-line block ×4, first 2 shown]
	v_mul_f64 v[140:141], v[100:101], s[34:35]
	v_fma_f64 v[142:143], v[80:81], s[22:23], v[156:157]
	v_add_f64 v[108:109], v[154:155], v[108:109]
	v_fma_f64 v[104:105], v[4:5], s[6:7], v[158:159]
	v_add_f64 v[86:87], v[126:127], v[148:149]
	v_mul_f64 v[126:127], v[92:93], s[28:29]
	v_fma_f64 v[148:149], v[4:5], s[12:13], v[162:163]
	v_add_f64 v[116:117], v[132:133], v[116:117]
	v_fma_f64 v[132:133], v[4:5], s[6:7], -v[158:159]
	v_add_f64 v[124:125], v[160:161], v[124:125]
	v_mul_f64 v[154:155], v[92:93], s[40:41]
	v_add_f64 v[136:137], v[150:151], v[136:137]
	v_fma_f64 v[150:151], v[4:5], s[12:13], -v[162:163]
	v_mul_f64 v[158:159], v[102:103], s[46:47]
	v_mul_f64 v[92:93], v[92:93], s[50:51]
	v_fma_f64 v[156:157], v[80:81], s[22:23], -v[156:157]
	v_add_f64 v[146:147], v[152:153], v[146:147]
	v_fma_f64 v[152:153], v[4:5], s[10:11], v[90:91]
	v_fma_f64 v[4:5], v[4:5], s[10:11], -v[90:91]
	v_add_f64 v[0:1], v[76:77], v[0:1]
	v_add_f64 v[6:7], v[34:35], v[6:7]
	v_mul_f64 v[76:77], v[102:103], s[48:49]
	v_fma_f64 v[114:115], v[80:81], s[20:21], v[140:141]
	v_add_f64 v[110:111], v[142:143], v[110:111]
	v_fma_f64 v[140:141], v[80:81], s[20:21], -v[140:141]
	v_mul_f64 v[142:143], v[98:99], s[54:55]
	v_add_f64 v[86:87], v[104:105], v[86:87]
	v_fma_f64 v[90:91], v[74:75], s[16:17], v[126:127]
	v_mul_f64 v[104:105], v[98:99], s[48:49]
	v_fma_f64 v[126:127], v[74:75], s[16:17], -v[126:127]
	v_add_f64 v[116:117], v[132:133], v[116:117]
	v_add_f64 v[124:125], v[148:149], v[124:125]
	v_fma_f64 v[132:133], v[74:75], s[6:7], v[154:155]
	v_fma_f64 v[148:149], v[74:75], s[6:7], -v[154:155]
	v_add_f64 v[136:137], v[150:151], v[136:137]
	v_fma_f64 v[150:151], v[82:83], s[16:17], v[158:159]
	v_mul_f64 v[98:99], v[98:99], s[46:47]
	v_mul_f64 v[154:155], v[102:103], s[30:31]
	v_add_f64 v[106:107], v[118:119], v[106:107]
	v_add_f64 v[146:147], v[152:153], v[146:147]
	v_fma_f64 v[152:153], v[74:75], s[22:23], v[92:93]
	v_fma_f64 v[74:75], v[74:75], s[22:23], -v[92:93]
	v_add_f64 v[0:1], v[4:5], v[0:1]
	v_add_f64 v[4:5], v[30:31], v[6:7]
	v_fma_f64 v[6:7], v[82:83], s[24:25], v[76:77]
	v_fma_f64 v[76:77], v[82:83], s[24:25], -v[76:77]
	v_add_f64 v[134:135], v[140:141], v[134:135]
	v_mul_f64 v[92:93], v[100:101], s[30:31]
	v_fma_f64 v[140:141], v[78:79], s[20:21], -v[142:143]
	v_add_f64 v[86:87], v[90:91], v[86:87]
	v_fma_f64 v[90:91], v[78:79], s[24:25], v[104:105]
	v_fma_f64 v[104:105], v[78:79], s[24:25], -v[104:105]
	v_add_f64 v[116:117], v[126:127], v[116:117]
	v_fma_f64 v[126:127], v[78:79], s[20:21], v[142:143]
	v_add_f64 v[124:125], v[132:133], v[124:125]
	v_mul_f64 v[132:133], v[100:101], s[28:29]
	v_add_f64 v[136:137], v[148:149], v[136:137]
	v_add_f64 v[114:115], v[114:115], v[138:139]
	v_fma_f64 v[138:139], v[82:83], s[16:17], -v[158:159]
	v_add_f64 v[142:143], v[150:151], v[144:145]
	v_mul_f64 v[100:101], v[100:101], s[26:27]
	v_add_f64 v[112:113], v[156:157], v[112:113]
	v_add_f64 v[144:145], v[152:153], v[146:147]
	v_fma_f64 v[146:147], v[78:79], s[16:17], v[98:99]
	v_fma_f64 v[78:79], v[78:79], s[16:17], -v[98:99]
	v_add_f64 v[0:1], v[74:75], v[0:1]
	v_add_f64 v[4:5], v[26:27], v[4:5]
	v_mul_f64 v[74:75], v[102:103], s[52:53]
	v_add_f64 v[6:7], v[6:7], v[130:131]
	v_add_f64 v[76:77], v[76:77], v[108:109]
	v_mul_f64 v[98:99], v[102:103], s[50:51]
	v_fma_f64 v[148:149], v[82:83], s[18:19], -v[154:155]
	v_add_f64 v[86:87], v[90:91], v[86:87]
	v_fma_f64 v[90:91], v[80:81], s[18:19], v[92:93]
	v_add_f64 v[104:105], v[104:105], v[116:117]
	v_fma_f64 v[92:93], v[80:81], s[18:19], -v[92:93]
	v_add_f64 v[108:109], v[126:127], v[124:125]
	v_fma_f64 v[116:117], v[80:81], s[16:17], v[132:133]
	v_mul_f64 v[124:125], v[102:103], s[42:43]
	v_add_f64 v[126:127], v[140:141], v[136:137]
	v_fma_f64 v[130:131], v[80:81], s[16:17], -v[132:133]
	v_add_f64 v[122:123], v[138:139], v[122:123]
	v_fma_f64 v[138:139], v[82:83], s[18:19], v[154:155]
	v_fma_f64 v[132:133], v[80:81], s[12:13], v[100:101]
	v_mul_f64 v[102:103], v[102:103], s[34:35]
	v_add_f64 v[118:119], v[146:147], v[144:145]
	v_fma_f64 v[80:81], v[80:81], s[12:13], -v[100:101]
	v_add_f64 v[0:1], v[78:79], v[0:1]
	v_add_f64 v[4:5], v[22:23], v[4:5]
	v_fma_f64 v[78:79], v[82:83], s[12:13], v[74:75]
	v_mul_f64 v[136:137], v[88:89], s[46:47]
	v_mul_f64 v[100:101], v[88:89], s[36:37]
	;; [unrolled: 1-line block ×3, first 2 shown]
	v_fma_f64 v[74:75], v[82:83], s[12:13], -v[74:75]
	v_add_f64 v[112:113], v[148:149], v[112:113]
	v_add_f64 v[86:87], v[90:91], v[86:87]
	v_fma_f64 v[90:91], v[82:83], s[22:23], v[98:99]
	v_add_f64 v[92:93], v[92:93], v[104:105]
	v_fma_f64 v[98:99], v[82:83], s[22:23], -v[98:99]
	v_add_f64 v[104:105], v[116:117], v[108:109]
	v_fma_f64 v[108:109], v[82:83], s[10:11], v[124:125]
	v_mul_f64 v[116:117], v[88:89], s[48:49]
	v_add_f64 v[126:127], v[130:131], v[126:127]
	v_fma_f64 v[124:125], v[82:83], s[10:11], -v[124:125]
	v_mul_f64 v[130:131], v[88:89], s[34:35]
	v_add_f64 v[110:111], v[138:139], v[110:111]
	v_mul_f64 v[138:139], v[88:89], s[26:27]
	v_add_f64 v[118:119], v[132:133], v[118:119]
	v_fma_f64 v[132:133], v[82:83], s[20:21], v[102:103]
	v_fma_f64 v[82:83], v[82:83], s[20:21], -v[102:103]
	v_mul_f64 v[88:89], v[88:89], s[40:41]
	v_add_f64 v[0:1], v[80:81], v[0:1]
	v_add_f64 v[4:5], v[18:19], v[4:5]
	;; [unrolled: 1-line block ×3, first 2 shown]
	v_fma_f64 v[114:115], v[84:85], s[16:17], -v[136:137]
	v_fma_f64 v[80:81], v[84:85], s[22:23], v[100:101]
	v_fma_f64 v[100:101], v[84:85], s[22:23], -v[100:101]
	v_fma_f64 v[102:103], v[84:85], s[16:17], v[136:137]
	v_add_f64 v[86:87], v[90:91], v[86:87]
	v_add_f64 v[74:75], v[74:75], v[134:135]
	;; [unrolled: 1-line block ×4, first 2 shown]
	v_fma_f64 v[104:105], v[84:85], s[24:25], v[116:117]
	v_fma_f64 v[108:109], v[84:85], s[24:25], -v[116:117]
	v_add_f64 v[116:117], v[124:125], v[126:127]
	v_fma_f64 v[124:125], v[84:85], s[20:21], v[130:131]
	v_fma_f64 v[126:127], v[84:85], s[20:21], -v[130:131]
	v_fma_f64 v[130:131], v[84:85], s[18:19], -v[140:141]
	;; [unrolled: 1-line block ×3, first 2 shown]
	v_fma_f64 v[134:135], v[84:85], s[12:13], v[138:139]
	v_add_f64 v[118:119], v[132:133], v[118:119]
	v_fma_f64 v[132:133], v[84:85], s[18:19], v[140:141]
	v_fma_f64 v[136:137], v[84:85], s[6:7], -v[88:89]
	v_add_f64 v[0:1], v[82:83], v[0:1]
	v_add_f64 v[4:5], v[14:15], v[4:5]
	v_fma_f64 v[82:83], v[84:85], s[6:7], v[88:89]
	v_add_f64 v[76:77], v[114:115], v[76:77]
	v_add_f64 v[88:89], v[120:121], v[106:107]
	;; [unrolled: 1-line block ×7, first 2 shown]
	v_mul_u32_u24_e32 v104, 0x88, v128
	v_add_f64 v[86:87], v[124:125], v[86:87]
	v_add_f64 v[90:91], v[126:127], v[90:91]
	;; [unrolled: 1-line block ×5, first 2 shown]
	v_add3_u32 v104, 0, v104, v129
	v_add_f64 v[98:99], v[132:133], v[98:99]
	v_add_f64 v[0:1], v[136:137], v[0:1]
	;; [unrolled: 1-line block ×4, first 2 shown]
	ds_write2_b64 v104, v[88:89], v[76:77] offset0:6 offset1:7
	ds_write2_b64 v104, v[84:85], v[80:81] offset0:8 offset1:9
	;; [unrolled: 1-line block ×7, first 2 shown]
	ds_write2_b64 v104, v[4:5], v[0:1] offset1:1
	ds_write_b64 v104, v[82:83] offset:128
.LBB0_13:
	s_or_b32 exec_lo, exec_lo, s1
	v_add_f64 v[120:121], v[70:71], -v[10:11]
	v_add_f64 v[70:71], v[12:13], v[72:73]
	v_add_f64 v[106:107], v[66:67], -v[14:15]
	v_add_f64 v[66:67], v[16:17], v[68:69]
	;; [unrolled: 2-line block ×7, first 2 shown]
	v_add_f64 v[14:15], v[42:43], -v[38:39]
	s_waitcnt lgkmcnt(0)
	s_barrier
	buffer_gl0_inv
	v_mul_f64 v[98:99], v[120:121], s[26:27]
	v_mul_f64 v[100:101], v[106:107], s[28:29]
	;; [unrolled: 1-line block ×8, first 2 shown]
	v_fma_f64 v[0:1], v[70:71], s[12:13], -v[98:99]
	v_fma_f64 v[4:5], v[66:67], s[16:17], -v[100:101]
	;; [unrolled: 1-line block ×4, first 2 shown]
	v_add_f64 v[0:1], v[8:9], v[0:1]
	v_add_f64 v[0:1], v[4:5], v[0:1]
	v_fma_f64 v[4:5], v[58:59], s[20:21], -v[104:105]
	v_add_f64 v[0:1], v[6:7], v[0:1]
	v_fma_f64 v[6:7], v[54:55], s[22:23], -v[30:31]
	v_add_f64 v[0:1], v[4:5], v[0:1]
	v_add_f64 v[4:5], v[40:41], v[44:45]
	;; [unrolled: 1-line block ×3, first 2 shown]
	v_fma_f64 v[6:7], v[18:19], s[6:7], -v[22:23]
	v_add_f64 v[0:1], v[38:39], v[0:1]
	v_fma_f64 v[38:39], v[4:5], s[10:11], -v[10:11]
	v_add_f64 v[6:7], v[6:7], v[0:1]
	v_lshlrev_b32_e32 v0, 3, v128
	v_add_nc_u32_e32 v130, 0, v0
	v_add3_u32 v123, 0, v129, v0
	v_add_nc_u32_e32 v122, v130, v129
	ds_read_b64 v[0:1], v123
	v_add_nc_u32_e32 v124, 0x800, v122
	v_add_nc_u32_e32 v125, 0xc00, v122
	v_add_nc_u32_e32 v126, 0x1400, v122
	v_add_nc_u32_e32 v127, 0x1800, v122
	ds_read2_b64 v[90:93], v122 offset0:102 offset1:204
	ds_read2_b64 v[86:89], v124 offset0:50 offset1:152
	v_add_f64 v[6:7], v[38:39], v[6:7]
	ds_read2_b64 v[82:85], v125 offset0:126 offset1:228
	ds_read2_b64 v[74:77], v126 offset0:74 offset1:176
	;; [unrolled: 1-line block ×3, first 2 shown]
	s_waitcnt lgkmcnt(0)
	s_barrier
	buffer_gl0_inv
	s_and_saveexec_b32 s33, s0
	s_cbranch_execz .LBB0_15
; %bb.14:
	v_add_f64 v[131:132], v[72:73], v[8:9]
	s_mov_b32 s42, 0x5d8e7cdc
	v_mul_f64 v[72:73], v[58:59], s[20:21]
	s_mov_b32 s43, 0xbfd71e95
	s_mov_b32 s21, 0xbfe58eea
	s_mov_b32 s20, 0x2a9d6da3
	v_mul_f64 v[116:117], v[70:71], s[12:13]
	v_mul_f64 v[38:39], v[66:67], s[16:17]
	;; [unrolled: 1-line block ×6, first 2 shown]
	s_mov_b32 s46, 0x7c9e640b
	s_mov_b32 s44, 0xeb564b22
	;; [unrolled: 1-line block ×8, first 2 shown]
	v_mul_f64 v[114:115], v[54:55], s[22:23]
	s_mov_b32 s0, 0x370991
	v_add_f64 v[68:69], v[68:69], v[131:132]
	s_mov_b32 s12, 0x75d4884
	v_mul_f64 v[137:138], v[120:121], s[46:47]
	v_mul_f64 v[139:140], v[120:121], s[44:45]
	;; [unrolled: 1-line block ×5, first 2 shown]
	s_mov_b32 s1, 0x3fedd6d0
	s_mov_b32 s13, 0x3fe7a5f6
	v_mul_f64 v[145:146], v[106:107], s[20:21]
	v_mul_f64 v[147:148], v[106:107], s[44:45]
	v_add_f64 v[98:99], v[116:117], v[98:99]
	v_add_f64 v[38:39], v[38:39], v[100:101]
	v_add_f64 v[42:43], v[42:43], v[102:103]
	v_fma_f64 v[100:101], v[70:71], s[0:1], -v[133:134]
	v_fma_f64 v[102:103], v[70:71], s[12:13], v[135:136]
	s_mov_b32 s30, 0x2b2883cd
	s_mov_b32 s16, 0x3259b75e
	;; [unrolled: 1-line block ×6, first 2 shown]
	v_add_f64 v[68:69], v[64:65], v[68:69]
	s_mov_b32 s31, 0x3fdc86fa
	s_mov_b32 s17, 0x3fb79ee6
	;; [unrolled: 1-line block ×12, first 2 shown]
	v_mul_f64 v[149:150], v[106:107], s[36:37]
	v_mul_f64 v[151:152], v[106:107], s[38:39]
	;; [unrolled: 1-line block ×5, first 2 shown]
	v_add_f64 v[30:31], v[114:115], v[30:31]
	v_add_f64 v[34:35], v[118:119], v[34:35]
	v_fma_f64 v[114:115], v[70:71], s[30:31], v[137:138]
	v_fma_f64 v[116:117], v[70:71], s[30:31], -v[137:138]
	v_add_f64 v[60:61], v[60:61], v[68:69]
	v_fma_f64 v[118:119], v[70:71], s[16:17], v[139:140]
	v_fma_f64 v[137:138], v[70:71], s[18:19], -v[141:142]
	v_mul_f64 v[153:154], v[108:109], s[46:47]
	v_mul_f64 v[155:156], v[108:109], s[36:37]
	v_add_f64 v[98:99], v[8:9], v[98:99]
	v_add_f64 v[100:101], v[8:9], v[100:101]
	;; [unrolled: 1-line block ×3, first 2 shown]
	s_mov_b32 s28, 0x6ed5f1bb
	s_mov_b32 s29, 0xbfe348c8
	;; [unrolled: 1-line block ×7, first 2 shown]
	v_mul_f64 v[68:69], v[108:109], s[44:45]
	v_mul_f64 v[157:158], v[108:109], s[34:35]
	;; [unrolled: 1-line block ×5, first 2 shown]
	v_fma_f64 v[213:214], v[66:67], s[28:29], v[149:150]
	v_fma_f64 v[149:150], v[66:67], s[28:29], -v[149:150]
	v_add_f64 v[56:57], v[56:57], v[60:61]
	v_fma_f64 v[215:216], v[66:67], s[26:27], v[151:152]
	v_fma_f64 v[151:152], v[66:67], s[26:27], -v[151:152]
	v_fma_f64 v[249:250], v[66:67], s[22:23], v[189:190]
	v_fma_f64 v[189:190], v[66:67], s[22:23], -v[189:190]
	v_fma_f64 v[251:252], v[66:67], s[0:1], v[106:107]
	v_add_f64 v[114:115], v[8:9], v[114:115]
	v_add_f64 v[116:117], v[8:9], v[116:117]
	;; [unrolled: 1-line block ×4, first 2 shown]
	v_mul_f64 v[159:160], v[110:111], s[44:45]
	v_mul_f64 v[161:162], v[110:111], s[38:39]
	v_fma_f64 v[217:218], v[62:63], s[30:31], v[153:154]
	v_fma_f64 v[153:154], v[62:63], s[30:31], -v[153:154]
	v_fma_f64 v[219:220], v[62:63], s[28:29], v[155:156]
	v_add_f64 v[38:39], v[38:39], v[98:99]
	s_mov_b32 s57, 0x3fe9895b
	s_mov_b32 s56, s36
	v_mul_f64 v[163:164], v[110:111], s[46:47]
	v_mul_f64 v[197:198], v[110:111], s[52:53]
	;; [unrolled: 1-line block ×4, first 2 shown]
	v_add_f64 v[52:53], v[52:53], v[56:57]
	v_add_f64 v[56:57], v[72:73], v[104:105]
	v_fma_f64 v[72:73], v[70:71], s[0:1], v[133:134]
	v_fma_f64 v[104:105], v[70:71], s[12:13], -v[135:136]
	v_fma_f64 v[133:134], v[70:71], s[16:17], -v[139:140]
	v_fma_f64 v[135:136], v[70:71], s[18:19], v[141:142]
	v_fma_f64 v[139:140], v[70:71], s[22:23], v[143:144]
	v_fma_f64 v[141:142], v[70:71], s[22:23], -v[143:144]
	v_fma_f64 v[143:144], v[70:71], s[26:27], v[120:121]
	v_fma_f64 v[70:71], v[70:71], s[26:27], -v[120:121]
	v_fma_f64 v[120:121], v[66:67], s[12:13], v[145:146]
	v_fma_f64 v[145:146], v[66:67], s[12:13], -v[145:146]
	v_mul_f64 v[110:111], v[110:111], s[20:21]
	v_fma_f64 v[155:156], v[62:63], s[28:29], -v[155:156]
	v_fma_f64 v[221:222], v[62:63], s[16:17], v[68:69]
	v_fma_f64 v[68:69], v[62:63], s[16:17], -v[68:69]
	v_fma_f64 v[223:224], v[62:63], s[22:23], v[157:158]
	v_fma_f64 v[157:158], v[62:63], s[22:23], -v[157:158]
	v_mul_f64 v[165:166], v[112:113], s[24:25]
	v_mul_f64 v[203:204], v[112:113], s[50:51]
	v_fma_f64 v[225:226], v[58:59], s[16:17], v[159:160]
	v_fma_f64 v[159:160], v[58:59], s[16:17], -v[159:160]
	v_add_f64 v[48:49], v[48:49], v[52:53]
	v_fma_f64 v[52:53], v[66:67], s[16:17], v[147:148]
	v_add_f64 v[72:73], v[8:9], v[72:73]
	v_fma_f64 v[147:148], v[66:67], s[16:17], -v[147:148]
	v_add_f64 v[104:105], v[8:9], v[104:105]
	v_add_f64 v[133:134], v[8:9], v[133:134]
	;; [unrolled: 1-line block ×8, first 2 shown]
	v_fma_f64 v[70:71], v[62:63], s[18:19], -v[195:196]
	v_fma_f64 v[227:228], v[58:59], s[26:27], v[161:162]
	v_add_f64 v[38:39], v[42:43], v[38:39]
	v_mul_f64 v[167:168], v[112:113], s[46:47]
	v_mul_f64 v[169:170], v[112:113], s[38:39]
	;; [unrolled: 1-line block ×5, first 2 shown]
	v_fma_f64 v[161:162], v[58:59], s[26:27], -v[161:162]
	v_fma_f64 v[229:230], v[58:59], s[30:31], v[163:164]
	v_add_f64 v[44:45], v[44:45], v[48:49]
	v_add_f64 v[52:53], v[52:53], v[102:103]
	;; [unrolled: 1-line block ×11, first 2 shown]
	v_fma_f64 v[163:164], v[58:59], s[30:31], -v[163:164]
	v_fma_f64 v[137:138], v[58:59], s[28:29], v[201:202]
	v_mul_f64 v[205:206], v[50:51], s[52:53]
	v_fma_f64 v[231:232], v[54:55], s[18:19], v[165:166]
	v_fma_f64 v[48:49], v[54:55], s[18:19], -v[165:166]
	v_add_f64 v[38:39], v[56:57], v[38:39]
	v_mul_f64 v[131:132], v[18:19], s[6:7]
	s_mov_b32 s7, 0x3fefdd0d
	s_mov_b32 s6, s44
	v_mul_f64 v[175:176], v[50:51], s[36:37]
	v_mul_f64 v[177:178], v[50:51], s[42:43]
	v_add_f64 v[40:41], v[40:41], v[44:45]
	v_fma_f64 v[44:45], v[66:67], s[30:31], v[191:192]
	v_fma_f64 v[191:192], v[66:67], s[30:31], -v[191:192]
	v_fma_f64 v[66:67], v[66:67], s[0:1], -v[106:107]
	v_fma_f64 v[106:107], v[62:63], s[26:27], v[193:194]
	v_fma_f64 v[193:194], v[62:63], s[26:27], -v[193:194]
	v_add_f64 v[42:43], v[217:218], v[72:73]
	v_add_f64 v[72:73], v[153:154], v[98:99]
	;; [unrolled: 1-line block ×5, first 2 shown]
	v_mul_f64 v[179:180], v[50:51], s[34:35]
	v_mul_f64 v[181:182], v[50:51], s[38:39]
	;; [unrolled: 1-line block ×4, first 2 shown]
	v_fma_f64 v[165:166], v[54:55], s[30:31], v[167:168]
	v_fma_f64 v[167:168], v[54:55], s[30:31], -v[167:168]
	v_fma_f64 v[233:234], v[54:55], s[26:27], v[169:170]
	v_fma_f64 v[169:170], v[54:55], s[26:27], -v[169:170]
	v_fma_f64 v[235:236], v[54:55], s[0:1], v[171:172]
	v_fma_f64 v[171:172], v[54:55], s[0:1], -v[171:172]
	v_fma_f64 v[237:238], v[54:55], s[28:29], v[173:174]
	v_add_f64 v[36:37], v[36:37], v[40:41]
	v_fma_f64 v[40:41], v[62:63], s[18:19], v[195:196]
	v_fma_f64 v[195:196], v[62:63], s[12:13], v[108:109]
	v_fma_f64 v[62:63], v[62:63], s[12:13], -v[108:109]
	v_add_f64 v[8:9], v[66:67], v[8:9]
	v_add_f64 v[44:45], v[44:45], v[139:140]
	;; [unrolled: 1-line block ×3, first 2 shown]
	v_fma_f64 v[108:109], v[58:59], s[18:19], v[197:198]
	v_fma_f64 v[197:198], v[58:59], s[18:19], -v[197:198]
	v_fma_f64 v[66:67], v[58:59], s[0:1], -v[199:200]
	;; [unrolled: 1-line block ×3, first 2 shown]
	v_fma_f64 v[141:142], v[58:59], s[12:13], v[110:111]
	v_add_f64 v[100:101], v[106:107], v[102:103]
	v_add_f64 v[102:103], v[193:194], v[104:105]
	;; [unrolled: 1-line block ×6, first 2 shown]
	v_fma_f64 v[173:174], v[54:55], s[28:29], -v[173:174]
	v_fma_f64 v[116:117], v[54:55], s[22:23], -v[203:204]
	v_add_f64 v[72:73], v[161:162], v[98:99]
	v_mul_f64 v[209:210], v[46:47], s[48:49]
	v_add_f64 v[32:33], v[32:33], v[36:37]
	v_fma_f64 v[36:37], v[58:59], s[0:1], v[199:200]
	v_fma_f64 v[58:59], v[58:59], s[12:13], -v[110:111]
	v_add_f64 v[62:63], v[62:63], v[120:121]
	v_add_f64 v[8:9], v[157:158], v[8:9]
	;; [unrolled: 1-line block ×6, first 2 shown]
	v_fma_f64 v[114:115], v[54:55], s[22:23], v[203:204]
	v_fma_f64 v[118:119], v[54:55], s[12:13], v[112:113]
	v_fma_f64 v[54:55], v[54:55], s[12:13], -v[112:113]
	v_add_f64 v[98:99], v[108:109], v[100:101]
	v_add_f64 v[100:101], v[197:198], v[102:103]
	;; [unrolled: 1-line block ×5, first 2 shown]
	v_mul_f64 v[183:184], v[46:47], s[34:35]
	v_mul_f64 v[185:186], v[46:47], s[44:45]
	;; [unrolled: 1-line block ×5, first 2 shown]
	v_add_f64 v[28:29], v[28:29], v[32:33]
	v_mul_f64 v[46:47], v[46:47], s[20:21]
	v_fma_f64 v[239:240], v[26:27], s[28:29], v[175:176]
	v_add_f64 v[62:63], v[163:164], v[62:63]
	v_add_f64 v[8:9], v[58:59], v[8:9]
	v_add_f64 v[36:37], v[36:37], v[40:41]
	v_add_f64 v[40:41], v[66:67], v[70:71]
	v_add_f64 v[66:67], v[229:230], v[104:105]
	v_add_f64 v[44:45], v[137:138], v[44:45]
	v_add_f64 v[68:69], v[139:140], v[68:69]
	v_add_f64 v[70:71], v[141:142], v[106:107]
	v_add_f64 v[48:49], v[114:115], v[52:53]
	v_fma_f64 v[175:176], v[26:27], s[28:29], -v[175:176]
	v_fma_f64 v[241:242], v[26:27], s[0:1], v[177:178]
	v_fma_f64 v[177:178], v[26:27], s[0:1], -v[177:178]
	v_fma_f64 v[243:244], v[26:27], s[22:23], v[179:180]
	;; [unrolled: 2-line block ×3, first 2 shown]
	v_fma_f64 v[181:182], v[26:27], s[26:27], -v[181:182]
	v_fma_f64 v[58:59], v[26:27], s[18:19], -v[205:206]
	v_fma_f64 v[102:103], v[26:27], s[16:17], v[207:208]
	v_fma_f64 v[104:105], v[26:27], s[16:17], -v[207:208]
	v_add_f64 v[24:25], v[24:25], v[28:29]
	v_fma_f64 v[28:29], v[26:27], s[18:19], v[205:206]
	v_fma_f64 v[106:107], v[26:27], s[30:31], v[50:51]
	v_fma_f64 v[26:27], v[26:27], s[30:31], -v[50:51]
	v_add_f64 v[50:51], v[116:117], v[72:73]
	v_add_f64 v[54:55], v[54:55], v[100:101]
	;; [unrolled: 1-line block ×10, first 2 shown]
	v_fma_f64 v[70:71], v[18:19], s[30:31], v[209:210]
	v_add_f64 v[40:41], v[167:168], v[40:41]
	v_fma_f64 v[247:248], v[18:19], s[22:23], v[183:184]
	v_fma_f64 v[183:184], v[18:19], s[22:23], -v[183:184]
	v_fma_f64 v[32:33], v[18:19], s[16:17], v[185:186]
	v_fma_f64 v[110:111], v[18:19], s[16:17], -v[185:186]
	v_fma_f64 v[72:73], v[18:19], s[30:31], -v[209:210]
	v_fma_f64 v[98:99], v[18:19], s[28:29], v[211:212]
	v_add_f64 v[20:21], v[20:21], v[24:25]
	v_add_f64 v[28:29], v[28:29], v[48:49]
	v_fma_f64 v[24:25], v[18:19], s[0:1], v[60:61]
	v_fma_f64 v[60:61], v[18:19], s[0:1], -v[60:61]
	v_fma_f64 v[100:101], v[18:19], s[28:29], -v[211:212]
	v_add_f64 v[30:31], v[34:35], v[30:31]
	v_add_f64 v[34:35], v[239:240], v[38:39]
	v_add_f64 v[38:39], v[175:176], v[42:43]
	v_add_f64 v[42:43], v[58:59], v[50:51]
	v_add_f64 v[50:51], v[177:178], v[54:55]
	v_add_f64 v[54:55], v[104:105], v[62:63]
	v_add_f64 v[8:9], v[26:27], v[8:9]
	v_fma_f64 v[26:27], v[18:19], s[12:13], -v[46:47]
	v_mul_f64 v[62:63], v[14:15], s[38:39]
	v_add_f64 v[48:49], v[241:242], v[52:53]
	v_add_f64 v[52:53], v[102:103], v[56:57]
	;; [unrolled: 1-line block ×5, first 2 shown]
	v_mul_f64 v[66:67], v[14:15], s[40:41]
	v_mul_f64 v[68:69], v[14:15], s[34:35]
	v_add_f64 v[36:37], v[243:244], v[36:37]
	v_add_f64 v[16:17], v[16:17], v[20:21]
	;; [unrolled: 1-line block ×3, first 2 shown]
	v_fma_f64 v[22:23], v[18:19], s[12:13], v[46:47]
	v_fma_f64 v[46:47], v[18:19], s[18:19], v[187:188]
	v_fma_f64 v[18:19], v[18:19], s[18:19], -v[187:188]
	v_mul_f64 v[102:103], v[14:15], s[20:21]
	v_mul_f64 v[104:105], v[14:15], s[36:37]
	;; [unrolled: 1-line block ×3, first 2 shown]
	v_add_f64 v[28:29], v[70:71], v[28:29]
	v_mul_f64 v[70:71], v[14:15], s[24:25]
	v_mul_f64 v[14:15], v[14:15], s[6:7]
	v_add_f64 v[40:41], v[179:180], v[40:41]
	v_add_f64 v[34:35], v[247:248], v[34:35]
	;; [unrolled: 1-line block ×9, first 2 shown]
	v_fma_f64 v[52:53], v[4:5], s[22:23], v[68:69]
	v_add_f64 v[36:37], v[98:99], v[36:37]
	v_fma_f64 v[68:69], v[4:5], s[22:23], -v[68:69]
	v_add_f64 v[20:21], v[20:21], v[30:31]
	v_add_f64 v[22:23], v[22:23], v[44:45]
	v_fma_f64 v[44:45], v[4:5], s[0:1], v[66:67]
	v_add_f64 v[8:9], v[18:19], v[8:9]
	v_fma_f64 v[18:19], v[4:5], s[26:27], v[62:63]
	;; [unrolled: 2-line block ×3, first 2 shown]
	v_fma_f64 v[58:59], v[4:5], s[28:29], v[104:105]
	v_add_f64 v[10:11], v[64:65], v[10:11]
	v_fma_f64 v[60:61], v[4:5], s[18:19], v[70:71]
	v_fma_f64 v[64:65], v[4:5], s[16:17], v[14:15]
	v_fma_f64 v[14:15], v[4:5], s[16:17], -v[14:15]
	v_fma_f64 v[46:47], v[4:5], s[0:1], -v[66:67]
	;; [unrolled: 1-line block ×3, first 2 shown]
	v_add_f64 v[40:41], v[100:101], v[40:41]
	v_fma_f64 v[56:57], v[4:5], s[12:13], -v[102:103]
	v_fma_f64 v[70:71], v[4:5], s[28:29], -v[104:105]
	;; [unrolled: 1-line block ×3, first 2 shown]
	v_add_f64 v[12:13], v[12:13], v[16:17]
	v_add_f64 v[32:33], v[52:53], v[32:33]
	;; [unrolled: 1-line block ×16, first 2 shown]
	v_lshlrev_b32_e32 v38, 7, v128
	v_add3_u32 v38, v130, v38, v129
	ds_write2_b64 v38, v[12:13], v[16:17] offset1:1
	ds_write2_b64 v38, v[18:19], v[32:33] offset0:2 offset1:3
	ds_write2_b64 v38, v[34:35], v[24:25] offset0:4 offset1:5
	;; [unrolled: 1-line block ×7, first 2 shown]
	ds_write_b64 v38, v[4:5] offset:128
.LBB0_15:
	s_or_b32 exec_lo, exec_lo, s33
	v_and_b32_e32 v4, 0xff, v128
	v_mov_b32_e32 v5, 10
	s_load_dwordx2 s[4:5], s[4:5], 0x0
	s_waitcnt lgkmcnt(0)
	s_barrier
	v_mul_lo_u16 v4, 0xf1, v4
	buffer_gl0_inv
	s_mov_b32 s20, 0xf8bb580b
	s_mov_b32 s24, 0x8eee2c13
	;; [unrolled: 1-line block ×3, first 2 shown]
	v_lshrrev_b16 v24, 12, v4
	s_mov_b32 s21, 0xbfe14ced
	s_mov_b32 s25, 0xbfed1bb4
	;; [unrolled: 1-line block ×4, first 2 shown]
	v_mul_lo_u16 v4, v24, 17
	s_mov_b32 s28, 0xfd768dbf
	s_mov_b32 s27, 0xbfe82f19
	;; [unrolled: 1-line block ×4, first 2 shown]
	v_sub_nc_u16 v25, v128, v4
	s_mov_b32 s10, 0xd9c712b6
	s_mov_b32 s12, 0x640f44db
	;; [unrolled: 1-line block ×4, first 2 shown]
	v_mul_u32_u24_sdwa v4, v25, v5 dst_sel:DWORD dst_unused:UNUSED_PAD src0_sel:BYTE_0 src1_sel:DWORD
	s_mov_b32 s13, 0xbfc2375f
	s_mov_b32 s18, 0x7f775887
	;; [unrolled: 1-line block ×4, first 2 shown]
	v_lshlrev_b32_e32 v4, 4, v4
	s_mov_b32 s39, 0x3fefac9e
	s_mov_b32 s37, 0x3fe14ced
	;; [unrolled: 1-line block ×4, first 2 shown]
	s_clause 0x9
	global_load_dwordx4 v[8:11], v4, s[8:9]
	global_load_dwordx4 v[12:15], v4, s[8:9] offset:16
	global_load_dwordx4 v[18:21], v4, s[8:9] offset:144
	;; [unrolled: 1-line block ×9, first 2 shown]
	ds_read2_b64 v[46:49], v122 offset0:102 offset1:204
	ds_read2_b64 v[60:63], v124 offset0:50 offset1:152
	;; [unrolled: 1-line block ×5, first 2 shown]
	s_mov_b32 s36, s20
	s_mov_b32 s19, 0xbfe4f49e
	;; [unrolled: 1-line block ×5, first 2 shown]
	v_and_b32_e32 v24, 0xffff, v24
	v_cmp_gt_u32_e64 s0, 0x55, v128
	v_mad_u32_u24 v24, 0x5d8, v24, 0
	s_waitcnt vmcnt(9) lgkmcnt(4)
	v_mul_f64 v[4:5], v[46:47], v[10:11]
	s_waitcnt vmcnt(8)
	v_mul_f64 v[16:17], v[48:49], v[14:15]
	v_mul_f64 v[14:15], v[92:93], v[14:15]
	s_waitcnt vmcnt(6) lgkmcnt(3)
	v_mul_f64 v[22:23], v[60:61], v[28:29]
	s_waitcnt vmcnt(5)
	v_mul_f64 v[54:55], v[78:79], v[32:33]
	s_waitcnt vmcnt(4)
	v_mul_f64 v[64:65], v[62:63], v[36:37]
	s_waitcnt lgkmcnt(0)
	v_mul_f64 v[116:117], v[106:107], v[32:33]
	v_mul_f64 v[28:29], v[86:87], v[28:29]
	;; [unrolled: 1-line block ×3, first 2 shown]
	s_waitcnt vmcnt(2)
	v_mul_f64 v[110:111], v[76:77], v[44:45]
	s_waitcnt vmcnt(0)
	v_mul_f64 v[114:115], v[74:75], v[72:73]
	v_mul_f64 v[118:119], v[104:105], v[44:45]
	;; [unrolled: 1-line block ×5, first 2 shown]
	v_fma_f64 v[50:51], v[90:91], v[8:9], -v[4:5]
	v_mul_f64 v[4:5], v[90:91], v[10:11]
	v_mul_f64 v[10:11], v[80:81], v[20:21]
	v_fma_f64 v[56:57], v[92:93], v[12:13], -v[16:17]
	v_mul_f64 v[20:21], v[108:109], v[20:21]
	v_fma_f64 v[58:59], v[86:87], v[26:27], -v[22:23]
	v_fma_f64 v[44:45], v[48:49], v[12:13], v[14:15]
	v_fma_f64 v[48:49], v[88:89], v[34:35], -v[64:65]
	v_mul_f64 v[90:91], v[98:99], v[40:41]
	v_mul_f64 v[40:41], v[82:83], v[40:41]
	v_fma_f64 v[34:35], v[62:63], v[34:35], v[36:37]
	v_fma_f64 v[16:17], v[104:105], v[42:43], v[110:111]
	v_fma_f64 v[62:63], v[78:79], v[30:31], -v[116:117]
	v_add_f64 v[92:93], v[0:1], v[50:51]
	v_fma_f64 v[52:53], v[46:47], v[8:9], v[4:5]
	v_fma_f64 v[32:33], v[108:109], v[18:19], v[10:11]
	;; [unrolled: 1-line block ×3, first 2 shown]
	v_fma_f64 v[64:65], v[80:81], v[18:19], -v[20:21]
	v_fma_f64 v[46:47], v[60:61], v[26:27], v[28:29]
	v_fma_f64 v[18:19], v[102:103], v[70:71], v[114:115]
	v_fma_f64 v[54:55], v[74:75], v[70:71], -v[72:73]
	v_fma_f64 v[60:61], v[76:77], v[42:43], -v[118:119]
	;; [unrolled: 1-line block ×3, first 2 shown]
	v_fma_f64 v[22:23], v[98:99], v[38:39], v[40:41]
	v_fma_f64 v[38:39], v[84:85], v[66:67], -v[112:113]
	v_add_f64 v[30:31], v[56:57], v[62:63]
	v_fma_f64 v[20:21], v[100:101], v[66:67], v[68:69]
	v_add_f64 v[8:9], v[92:93], v[56:57]
	v_add_f64 v[10:11], v[52:53], -v[32:33]
	v_add_f64 v[12:13], v[44:45], -v[4:5]
	v_add_f64 v[26:27], v[50:51], v[64:65]
	v_add_f64 v[14:15], v[46:47], -v[16:17]
	v_add_f64 v[28:29], v[34:35], -v[18:19]
	v_add_f64 v[42:43], v[48:49], v[54:55]
	v_add_f64 v[40:41], v[58:59], v[60:61]
	;; [unrolled: 1-line block ×3, first 2 shown]
	v_add_f64 v[68:69], v[22:23], -v[20:21]
	v_add_f64 v[8:9], v[8:9], v[58:59]
	v_mul_f64 v[70:71], v[10:11], s[20:21]
	v_mul_f64 v[72:73], v[10:11], s[24:25]
	;; [unrolled: 1-line block ×20, first 2 shown]
	v_add_f64 v[8:9], v[8:9], v[48:49]
	v_mul_f64 v[106:107], v[68:69], s[28:29]
	v_fma_f64 v[110:111], v[26:27], s[6:7], -v[70:71]
	v_fma_f64 v[112:113], v[26:27], s[10:11], -v[72:73]
	v_fma_f64 v[72:73], v[26:27], s[10:11], v[72:73]
	v_fma_f64 v[114:115], v[26:27], s[12:13], -v[74:75]
	v_fma_f64 v[116:117], v[26:27], s[18:19], -v[76:77]
	v_fma_f64 v[76:77], v[26:27], s[18:19], v[76:77]
	v_fma_f64 v[118:119], v[26:27], s[22:23], -v[10:11]
	v_fma_f64 v[10:11], v[26:27], s[22:23], v[10:11]
	v_fma_f64 v[74:75], v[26:27], s[12:13], v[74:75]
	;; [unrolled: 1-line block ×3, first 2 shown]
	v_fma_f64 v[120:121], v[30:31], s[10:11], -v[78:79]
	v_fma_f64 v[78:79], v[30:31], s[10:11], v[78:79]
	v_fma_f64 v[124:125], v[30:31], s[18:19], -v[80:81]
	v_fma_f64 v[80:81], v[30:31], s[18:19], v[80:81]
	;; [unrolled: 2-line block ×5, first 2 shown]
	v_add_f64 v[8:9], v[8:9], v[36:37]
	v_fma_f64 v[134:135], v[40:41], s[22:23], -v[88:89]
	v_add_f64 v[30:31], v[0:1], v[110:111]
	v_add_f64 v[110:111], v[0:1], v[112:113]
	v_add_f64 v[72:73], v[0:1], v[72:73]
	v_add_f64 v[112:113], v[0:1], v[114:115]
	v_add_f64 v[114:115], v[0:1], v[116:117]
	v_add_f64 v[76:77], v[0:1], v[76:77]
	v_add_f64 v[116:117], v[0:1], v[118:119]
	v_add_f64 v[10:11], v[0:1], v[10:11]
	v_add_f64 v[74:75], v[0:1], v[74:75]
	v_add_f64 v[0:1], v[0:1], v[26:27]
	v_fma_f64 v[118:119], v[40:41], s[12:13], -v[86:87]
	v_fma_f64 v[86:87], v[40:41], s[12:13], v[86:87]
	v_fma_f64 v[88:89], v[40:41], s[22:23], v[88:89]
	v_fma_f64 v[136:137], v[40:41], s[10:11], -v[90:91]
	v_fma_f64 v[90:91], v[40:41], s[10:11], v[90:91]
	v_fma_f64 v[138:139], v[40:41], s[6:7], -v[92:93]
	;; [unrolled: 2-line block ×3, first 2 shown]
	v_fma_f64 v[14:15], v[40:41], s[18:19], v[14:15]
	v_mul_f64 v[108:109], v[68:69], s[36:37]
	v_add_f64 v[8:9], v[8:9], v[38:39]
	v_mul_f64 v[70:71], v[68:69], s[26:27]
	v_add_f64 v[30:31], v[120:121], v[30:31]
	v_add_f64 v[40:41], v[124:125], v[110:111]
	;; [unrolled: 1-line block ×10, first 2 shown]
	v_mul_f64 v[26:27], v[68:69], s[30:31]
	v_mul_f64 v[68:69], v[68:69], s[16:17]
	v_fma_f64 v[74:75], v[42:43], s[18:19], -v[98:99]
	v_fma_f64 v[78:79], v[42:43], s[18:19], v[98:99]
	v_fma_f64 v[82:83], v[42:43], s[12:13], -v[100:101]
	v_fma_f64 v[98:99], v[42:43], s[12:13], v[100:101]
	;; [unrolled: 2-line block ×4, first 2 shown]
	v_add_f64 v[8:9], v[8:9], v[54:55]
	v_fma_f64 v[114:115], v[42:43], s[10:11], -v[28:29]
	v_fma_f64 v[28:29], v[42:43], s[10:11], v[28:29]
	v_add_f64 v[30:31], v[118:119], v[30:31]
	v_add_f64 v[40:41], v[134:135], v[40:41]
	;; [unrolled: 1-line block ×10, first 2 shown]
	v_fma_f64 v[14:15], v[66:67], s[22:23], -v[106:107]
	v_fma_f64 v[86:87], v[66:67], s[22:23], v[106:107]
	v_fma_f64 v[88:89], v[66:67], s[6:7], -v[108:109]
	v_fma_f64 v[90:91], v[66:67], s[6:7], v[108:109]
	;; [unrolled: 2-line block ×4, first 2 shown]
	v_fma_f64 v[108:109], v[66:67], s[12:13], -v[68:69]
	v_add_f64 v[8:9], v[8:9], v[60:61]
	v_fma_f64 v[66:67], v[66:67], s[12:13], v[68:69]
	v_add_f64 v[30:31], v[74:75], v[30:31]
	v_add_f64 v[40:41], v[82:83], v[40:41]
	;; [unrolled: 1-line block ×21, first 2 shown]
	v_mov_b32_e32 v66, 3
	v_add_nc_u32_e32 v68, 0x400, v122
	v_add_nc_u32_e32 v69, 0x1000, v122
	v_lshlrev_b32_sdwa v25, v66, v25 dst_sel:DWORD dst_unused:UNUSED_PAD src0_sel:DWORD src1_sel:BYTE_0
	ds_read_b64 v[66:67], v123
	s_waitcnt lgkmcnt(0)
	s_barrier
	v_add_f64 v[28:29], v[78:79], v[64:65]
	v_add3_u32 v70, v24, v25, v129
	buffer_gl0_inv
	ds_write2_b64 v70, v[40:41], v[42:43] offset0:34 offset1:51
	ds_write2_b64 v70, v[72:73], v[26:27] offset0:68 offset1:85
	;; [unrolled: 1-line block ×4, first 2 shown]
	ds_write_b64 v70, v[0:1] offset:1360
	ds_write2_b64 v70, v[28:29], v[30:31] offset1:17
	s_waitcnt lgkmcnt(0)
	s_barrier
	buffer_gl0_inv
	ds_read2_b64 v[28:31], v68 offset0:59 offset1:246
	ds_read2_b64 v[24:27], v69 offset0:49 offset1:236
	ds_read_b64 v[40:41], v123
	ds_read_b64 v[42:43], v122 offset:7480
	s_and_saveexec_b32 s1, s0
	s_cbranch_execz .LBB0_17
; %bb.16:
	v_add_nc_u32_e32 v0, 0x200, v122
	v_add_nc_u32_e32 v1, 0xe00, v122
	;; [unrolled: 1-line block ×3, first 2 shown]
	ds_read2_b64 v[8:11], v0 offset0:38 offset1:225
	ds_read2_b64 v[12:15], v1 offset0:28 offset1:215
	;; [unrolled: 1-line block ×3, first 2 shown]
.LBB0_17:
	s_or_b32 exec_lo, exec_lo, s1
	v_add_f64 v[71:72], v[66:67], v[52:53]
	v_add_f64 v[50:51], v[50:51], -v[64:65]
	v_add_f64 v[58:59], v[58:59], -v[60:61]
	v_add_f64 v[56:57], v[56:57], -v[62:63]
	v_add_f64 v[52:53], v[52:53], v[32:33]
	v_add_f64 v[36:37], v[36:37], -v[38:39]
	v_add_f64 v[48:49], v[48:49], -v[54:55]
	v_add_f64 v[54:55], v[34:35], v[18:19]
	v_add_f64 v[62:63], v[22:23], v[20:21]
	s_waitcnt lgkmcnt(0)
	s_barrier
	buffer_gl0_inv
	v_add_f64 v[71:72], v[71:72], v[44:45]
	v_mul_f64 v[38:39], v[50:51], s[20:21]
	v_mul_f64 v[64:65], v[50:51], s[24:25]
	;; [unrolled: 1-line block ×3, first 2 shown]
	v_add_f64 v[44:45], v[44:45], v[4:5]
	v_mul_f64 v[75:76], v[56:57], s[24:25]
	v_mul_f64 v[77:78], v[56:57], s[26:27]
	;; [unrolled: 1-line block ×15, first 2 shown]
	v_add_f64 v[60:61], v[71:72], v[46:47]
	v_mul_f64 v[71:72], v[50:51], s[16:17]
	v_mul_f64 v[50:51], v[50:51], s[28:29]
	v_fma_f64 v[106:107], v[52:53], s[6:7], v[38:39]
	v_fma_f64 v[108:109], v[52:53], s[10:11], v[64:65]
	v_fma_f64 v[64:65], v[52:53], s[10:11], -v[64:65]
	v_fma_f64 v[112:113], v[52:53], s[18:19], v[73:74]
	v_fma_f64 v[73:74], v[52:53], s[18:19], -v[73:74]
	v_fma_f64 v[38:39], v[52:53], s[6:7], -v[38:39]
	v_add_f64 v[46:47], v[46:47], v[16:17]
	v_fma_f64 v[116:117], v[44:45], s[18:19], v[77:78]
	v_fma_f64 v[77:78], v[44:45], s[18:19], -v[77:78]
	v_fma_f64 v[118:119], v[44:45], s[22:23], v[79:80]
	v_fma_f64 v[79:80], v[44:45], s[22:23], -v[79:80]
	;; [unrolled: 2-line block ×3, first 2 shown]
	v_fma_f64 v[124:125], v[44:45], s[6:7], v[56:57]
	v_add_f64 v[34:35], v[60:61], v[34:35]
	v_fma_f64 v[110:111], v[52:53], s[12:13], v[71:72]
	v_fma_f64 v[114:115], v[52:53], s[22:23], v[50:51]
	v_fma_f64 v[50:51], v[52:53], s[22:23], -v[50:51]
	v_fma_f64 v[71:72], v[52:53], s[12:13], -v[71:72]
	v_mul_f64 v[60:61], v[58:59], s[34:35]
	v_mul_f64 v[58:59], v[58:59], s[26:27]
	v_fma_f64 v[52:53], v[44:45], s[10:11], v[75:76]
	v_fma_f64 v[75:76], v[44:45], s[10:11], -v[75:76]
	v_fma_f64 v[44:45], v[44:45], s[6:7], -v[56:57]
	v_add_f64 v[56:57], v[66:67], v[106:107]
	v_add_f64 v[106:107], v[66:67], v[108:109]
	v_add_f64 v[64:65], v[66:67], v[64:65]
	v_add_f64 v[73:74], v[66:67], v[73:74]
	v_add_f64 v[38:39], v[66:67], v[38:39]
	v_fma_f64 v[126:127], v[46:47], s[10:11], v[85:86]
	v_fma_f64 v[85:86], v[46:47], s[10:11], -v[85:86]
	v_fma_f64 v[129:130], v[46:47], s[6:7], v[87:88]
	v_fma_f64 v[87:88], v[46:47], s[6:7], -v[87:88]
	v_add_f64 v[22:23], v[34:35], v[22:23]
	v_add_f64 v[108:109], v[66:67], v[110:111]
	v_add_f64 v[110:111], v[66:67], v[112:113]
	v_add_f64 v[112:113], v[66:67], v[114:115]
	v_add_f64 v[50:51], v[66:67], v[50:51]
	v_add_f64 v[71:72], v[66:67], v[71:72]
	v_fma_f64 v[66:67], v[46:47], s[12:13], v[83:84]
	v_fma_f64 v[83:84], v[46:47], s[12:13], -v[83:84]
	v_fma_f64 v[114:115], v[46:47], s[22:23], v[60:61]
	v_fma_f64 v[60:61], v[46:47], s[22:23], -v[60:61]
	;; [unrolled: 2-line block ×3, first 2 shown]
	v_add_f64 v[52:53], v[52:53], v[56:57]
	v_add_f64 v[56:57], v[116:117], v[106:107]
	;; [unrolled: 1-line block ×5, first 2 shown]
	v_mul_f64 v[34:35], v[36:37], s[26:27]
	v_fma_f64 v[75:76], v[54:55], s[12:13], v[91:92]
	v_fma_f64 v[106:107], v[54:55], s[10:11], v[48:49]
	v_fma_f64 v[48:49], v[54:55], s[10:11], -v[48:49]
	v_add_f64 v[20:21], v[22:23], v[20:21]
	v_add_f64 v[64:65], v[118:119], v[108:109]
	v_add_f64 v[77:78], v[120:121], v[110:111]
	v_add_f64 v[81:82], v[124:125], v[112:113]
	v_add_f64 v[44:45], v[44:45], v[50:51]
	v_add_f64 v[50:51], v[79:80], v[71:72]
	v_mul_f64 v[22:23], v[36:37], s[30:31]
	v_fma_f64 v[71:72], v[54:55], s[18:19], -v[89:90]
	v_fma_f64 v[79:80], v[54:55], s[12:13], -v[91:92]
	;; [unrolled: 1-line block ×3, first 2 shown]
	v_add_f64 v[52:53], v[66:67], v[52:53]
	v_add_f64 v[38:39], v[83:84], v[38:39]
	;; [unrolled: 1-line block ×3, first 2 shown]
	v_mul_f64 v[20:21], v[36:37], s[16:17]
	v_fma_f64 v[36:37], v[54:55], s[18:19], v[89:90]
	v_fma_f64 v[89:90], v[54:55], s[6:7], v[98:99]
	;; [unrolled: 1-line block ×3, first 2 shown]
	v_fma_f64 v[100:101], v[54:55], s[22:23], -v[100:101]
	v_add_f64 v[54:55], v[114:115], v[56:57]
	v_add_f64 v[56:57], v[60:61], v[58:59]
	;; [unrolled: 1-line block ×8, first 2 shown]
	v_fma_f64 v[73:74], v[62:63], s[6:7], v[104:105]
	v_fma_f64 v[77:78], v[62:63], s[6:7], -v[104:105]
	v_fma_f64 v[81:82], v[62:63], s[18:19], v[34:35]
	v_fma_f64 v[83:84], v[62:63], s[10:11], v[22:23]
	v_fma_f64 v[85:86], v[62:63], s[10:11], -v[22:23]
	v_fma_f64 v[34:35], v[62:63], s[18:19], -v[34:35]
	;; [unrolled: 1-line block ×3, first 2 shown]
	v_add_f64 v[38:39], v[71:72], v[38:39]
	v_add_f64 v[16:17], v[18:19], v[16:17]
	v_fma_f64 v[18:19], v[62:63], s[22:23], v[102:103]
	v_add_f64 v[22:23], v[36:37], v[52:53]
	v_fma_f64 v[87:88], v[62:63], s[12:13], v[20:21]
	v_fma_f64 v[20:21], v[62:63], s[12:13], -v[20:21]
	v_add_f64 v[36:37], v[75:76], v[54:55]
	v_add_f64 v[52:53], v[79:80], v[56:57]
	;; [unrolled: 1-line block ×20, first 2 shown]
	ds_write2_b64 v70, v[36:37], v[52:53] offset0:34 offset1:51
	ds_write2_b64 v70, v[54:55], v[56:57] offset0:68 offset1:85
	;; [unrolled: 1-line block ×4, first 2 shown]
	ds_write_b64 v70, v[4:5] offset:1360
	ds_write2_b64 v70, v[32:33], v[62:63] offset1:17
	s_waitcnt lgkmcnt(0)
	s_barrier
	buffer_gl0_inv
	ds_read2_b64 v[32:35], v68 offset0:59 offset1:246
	ds_read2_b64 v[36:39], v69 offset0:49 offset1:236
	ds_read_b64 v[44:45], v123
	ds_read_b64 v[46:47], v122 offset:7480
	s_and_saveexec_b32 s1, s0
	s_cbranch_execz .LBB0_19
; %bb.18:
	v_add_nc_u32_e32 v4, 0x200, v122
	v_add_nc_u32_e32 v5, 0xe00, v122
	v_add_nc_u32_e32 v6, 0x1a00, v122
	ds_read2_b64 v[16:19], v4 offset0:38 offset1:225
	ds_read2_b64 v[20:23], v5 offset0:28 offset1:215
	;; [unrolled: 1-line block ×3, first 2 shown]
.LBB0_19:
	s_or_b32 exec_lo, exec_lo, s1
	s_and_saveexec_b32 s1, vcc_lo
	s_cbranch_execz .LBB0_22
; %bb.20:
	v_mul_u32_u24_e32 v48, 5, v128
	v_add_nc_u32_e32 v80, 0xbb, v128
	v_add_nc_u32_e32 v81, 0x176, v128
	;; [unrolled: 1-line block ×3, first 2 shown]
	v_mul_lo_u32 v78, s5, v96
	v_lshlrev_b32_e32 v48, 4, v48
	v_mul_lo_u32 v79, s4, v97
	v_mad_u64_u32 v[74:75], null, s2, v81, 0
	v_mad_u64_u32 v[76:77], null, s2, v87, 0
	v_add_co_u32 v48, s1, s8, v48
	v_add_co_ci_u32_e64 v49, null, s9, 0, s1
	s_mov_b32 s6, 0xe8584caa
	v_add_co_u32 v64, vcc_lo, 0xaa0, v48
	v_add_co_ci_u32_e32 v65, vcc_lo, 0, v49, vcc_lo
	v_add_co_u32 v56, vcc_lo, 0x800, v48
	v_add_co_ci_u32_e32 v57, vcc_lo, 0, v49, vcc_lo
	s_clause 0x4
	global_load_dwordx4 v[48:51], v[64:65], off offset:32
	global_load_dwordx4 v[52:55], v[56:57], off offset:736
	global_load_dwordx4 v[56:59], v[56:57], off offset:672
	global_load_dwordx4 v[60:63], v[64:65], off offset:16
	global_load_dwordx4 v[64:67], v[64:65], off offset:48
	s_mov_b32 s7, 0x3febb67a
	s_mov_b32 s5, 0xbfebb67a
	v_add_nc_u32_e32 v88, 0x2ec, v128
	v_add_nc_u32_e32 v89, 0x3a7, v128
	s_waitcnt vmcnt(4) lgkmcnt(2)
	v_mul_f64 v[68:69], v[36:37], v[50:51]
	s_waitcnt vmcnt(3) lgkmcnt(0)
	v_mul_f64 v[70:71], v[46:47], v[54:55]
	v_mul_f64 v[50:51], v[24:25], v[50:51]
	;; [unrolled: 1-line block ×3, first 2 shown]
	s_waitcnt vmcnt(2)
	v_mul_f64 v[72:73], v[32:33], v[58:59]
	v_mul_f64 v[58:59], v[28:29], v[58:59]
	v_fma_f64 v[68:69], v[24:25], v[48:49], -v[68:69]
	v_fma_f64 v[42:43], v[42:43], v[52:53], -v[70:71]
	v_fma_f64 v[36:37], v[36:37], v[48:49], v[50:51]
	v_fma_f64 v[46:47], v[46:47], v[52:53], v[54:55]
	s_waitcnt vmcnt(1)
	v_mul_f64 v[50:51], v[34:35], v[62:63]
	s_waitcnt vmcnt(0)
	v_mul_f64 v[52:53], v[38:39], v[66:67]
	v_mul_f64 v[54:55], v[30:31], v[62:63]
	v_mul_f64 v[62:63], v[26:27], v[66:67]
	v_fma_f64 v[28:29], v[28:29], v[56:57], -v[72:73]
	v_fma_f64 v[32:33], v[32:33], v[56:57], v[58:59]
	v_mad_u64_u32 v[66:67], null, s2, v128, 0
	v_mad_u64_u32 v[72:73], null, s2, v80, 0
	v_mov_b32_e32 v25, 0
	v_mad_u64_u32 v[48:49], null, s4, v96, 0
	s_mov_b32 s4, s6
	v_mov_b32_e32 v24, v67
	v_lshlrev_b64 v[70:71], 4, v[94:95]
	v_add3_u32 v49, v49, v79, v78
	v_add_f64 v[56:57], v[68:69], v[42:43]
	v_add_f64 v[58:59], v[36:37], v[46:47]
	v_fma_f64 v[30:31], v[30:31], v[60:61], -v[50:51]
	v_fma_f64 v[50:51], v[26:27], v[64:65], -v[52:53]
	v_fma_f64 v[34:35], v[34:35], v[60:61], v[54:55]
	v_fma_f64 v[38:39], v[38:39], v[64:65], v[62:63]
	v_add_f64 v[26:27], v[36:37], -v[46:47]
	v_add_f64 v[52:53], v[68:69], -v[42:43]
	v_mad_u64_u32 v[62:63], null, s3, v128, v[24:25]
	v_mov_b32_e32 v24, v73
	v_mov_b32_e32 v63, v75
	;; [unrolled: 1-line block ×3, first 2 shown]
	v_mad_u64_u32 v[60:61], null, s2, v89, 0
	v_mad_u64_u32 v[77:78], null, s3, v80, v[24:25]
	;; [unrolled: 1-line block ×3, first 2 shown]
	v_lshlrev_b64 v[48:49], 4, v[48:49]
	v_mov_b32_e32 v67, v62
	v_fma_f64 v[56:57], v[56:57], -0.5, v[28:29]
	v_fma_f64 v[54:55], v[58:59], -0.5, v[32:33]
	v_mad_u64_u32 v[58:59], null, s2, v88, 0
	v_add_f64 v[81:82], v[30:31], v[50:51]
	v_add_f64 v[78:79], v[34:35], v[38:39]
	v_add_co_u32 v24, vcc_lo, s14, v48
	v_add_f64 v[32:33], v[32:33], v[36:37]
	v_add_f64 v[28:29], v[28:29], v[68:69]
	v_mov_b32_e32 v73, v77
	v_mov_b32_e32 v75, v80
	v_fma_f64 v[85:86], v[26:27], s[4:5], v[56:57]
	v_fma_f64 v[83:84], v[52:53], s[6:7], v[54:55]
	;; [unrolled: 1-line block ×4, first 2 shown]
	v_mad_u64_u32 v[54:55], null, s3, v87, v[64:65]
	v_mad_u64_u32 v[63:64], null, s3, v88, v[59:60]
	v_add_co_ci_u32_e32 v27, vcc_lo, s15, v49, vcc_lo
	v_add_f64 v[48:49], v[30:31], -v[50:51]
	v_add_f64 v[87:88], v[44:45], v[34:35]
	v_add_f64 v[30:31], v[40:41], v[30:31]
	v_fma_f64 v[36:37], v[78:79], -0.5, v[44:45]
	v_add_f64 v[34:35], v[34:35], -v[38:39]
	v_fma_f64 v[40:41], v[81:82], -0.5, v[40:41]
	v_add_f64 v[32:33], v[32:33], v[46:47]
	v_add_f64 v[42:43], v[28:29], v[42:43]
	v_mad_u64_u32 v[64:65], null, s3, v89, v[61:62]
	v_mov_b32_e32 v77, v54
	v_mov_b32_e32 v59, v63
	v_mul_f64 v[81:82], v[85:86], -0.5
	v_mul_f64 v[44:45], v[83:84], -0.5
	v_mul_f64 v[68:69], v[56:57], s[4:5]
	v_mul_f64 v[78:79], v[52:53], s[6:7]
	v_lshlrev_b64 v[65:66], 4, v[66:67]
	v_add_co_u32 v26, vcc_lo, v24, v70
	v_add_co_ci_u32_e32 v27, vcc_lo, v27, v71, vcc_lo
	v_lshlrev_b64 v[28:29], 4, v[72:73]
	v_mov_b32_e32 v61, v64
	v_add_f64 v[38:39], v[87:88], v[38:39]
	v_add_f64 v[46:47], v[30:31], v[50:51]
	v_fma_f64 v[50:51], v[48:49], s[6:7], v[36:37]
	v_fma_f64 v[36:37], v[48:49], s[4:5], v[36:37]
	;; [unrolled: 1-line block ×4, first 2 shown]
	v_add_co_u32 v64, vcc_lo, v26, v65
	v_add_co_ci_u32_e32 v65, vcc_lo, v27, v66, vcc_lo
	v_add_co_u32 v71, vcc_lo, v26, v28
	v_fma_f64 v[44:45], v[85:86], s[4:5], v[44:45]
	v_fma_f64 v[52:53], v[52:53], 0.5, v[68:69]
	v_fma_f64 v[56:57], v[56:57], 0.5, v[78:79]
	v_fma_f64 v[62:63], v[83:84], s[6:7], v[81:82]
	v_add_co_ci_u32_e32 v72, vcc_lo, v27, v29, vcc_lo
	v_lshlrev_b64 v[67:68], 4, v[74:75]
	v_lshlrev_b64 v[69:70], 4, v[76:77]
	;; [unrolled: 1-line block ×4, first 2 shown]
	v_add_f64 v[30:31], v[38:39], -v[32:33]
	v_add_f64 v[34:35], v[38:39], v[32:33]
	v_add_f64 v[32:33], v[46:47], v[42:43]
	v_add_f64 v[28:29], v[46:47], -v[42:43]
	v_add_f64 v[38:39], v[50:51], -v[44:45]
	v_add_f64 v[42:43], v[50:51], v[44:45]
	v_add_f64 v[46:47], v[36:37], v[52:53]
	;; [unrolled: 1-line block ×4, first 2 shown]
	v_add_f64 v[50:51], v[36:37], -v[52:53]
	v_add_f64 v[48:49], v[48:49], -v[56:57]
	;; [unrolled: 1-line block ×3, first 2 shown]
	v_add_co_u32 v52, vcc_lo, v26, v67
	v_add_co_ci_u32_e32 v53, vcc_lo, v27, v68, vcc_lo
	v_add_co_u32 v54, vcc_lo, v26, v69
	v_add_co_ci_u32_e32 v55, vcc_lo, v27, v70, vcc_lo
	;; [unrolled: 2-line block ×4, first 2 shown]
	global_store_dwordx4 v[64:65], v[32:35], off
	global_store_dwordx4 v[71:72], v[44:47], off
	;; [unrolled: 1-line block ×6, first 2 shown]
	s_and_b32 exec_lo, exec_lo, s0
	s_cbranch_execz .LBB0_22
; %bb.21:
	v_add_nc_u32_e32 v54, 0x66, v128
	v_add_nc_u32_e32 v24, 0xffffffab, v128
	;; [unrolled: 1-line block ×6, first 2 shown]
	v_cndmask_b32_e64 v24, v24, v54, s0
	v_add_nc_u32_e32 v61, 0x40d, v128
	v_mul_i32_i24_e32 v24, 5, v24
	v_lshlrev_b64 v[24:25], 4, v[24:25]
	v_add_co_u32 v28, vcc_lo, s8, v24
	v_add_co_ci_u32_e32 v29, vcc_lo, s9, v25, vcc_lo
	v_add_co_u32 v24, vcc_lo, 0xaa0, v28
	v_add_co_ci_u32_e32 v25, vcc_lo, 0, v29, vcc_lo
	;; [unrolled: 2-line block ×3, first 2 shown]
	s_clause 0x4
	global_load_dwordx4 v[28:31], v[24:25], off offset:32
	global_load_dwordx4 v[32:35], v[36:37], off offset:736
	;; [unrolled: 1-line block ×5, first 2 shown]
	s_waitcnt vmcnt(4)
	v_mul_f64 v[24:25], v[22:23], v[30:31]
	v_mul_f64 v[30:31], v[14:15], v[30:31]
	s_waitcnt vmcnt(3)
	v_mul_f64 v[48:49], v[2:3], v[34:35]
	v_mul_f64 v[34:35], v[6:7], v[34:35]
	;; [unrolled: 3-line block ×3, first 2 shown]
	v_fma_f64 v[14:15], v[14:15], v[28:29], -v[24:25]
	v_fma_f64 v[22:23], v[22:23], v[28:29], v[30:31]
	v_fma_f64 v[6:7], v[6:7], v[32:33], v[48:49]
	v_fma_f64 v[2:3], v[2:3], v[32:33], -v[34:35]
	s_waitcnt vmcnt(1)
	v_mul_f64 v[24:25], v[20:21], v[42:43]
	v_mul_f64 v[28:29], v[12:13], v[42:43]
	s_waitcnt vmcnt(0)
	v_mul_f64 v[30:31], v[4:5], v[46:47]
	v_mul_f64 v[32:33], v[0:1], v[46:47]
	v_fma_f64 v[10:11], v[10:11], v[36:37], -v[50:51]
	v_fma_f64 v[18:19], v[18:19], v[36:37], v[38:39]
	v_mad_u64_u32 v[38:39], null, s2, v56, 0
	v_mad_u64_u32 v[42:43], null, s2, v59, 0
	v_add_f64 v[34:35], v[22:23], v[6:7]
	v_add_f64 v[36:37], v[14:15], v[2:3]
	v_fma_f64 v[12:13], v[12:13], v[40:41], -v[24:25]
	v_fma_f64 v[20:21], v[20:21], v[40:41], v[28:29]
	v_fma_f64 v[0:1], v[0:1], v[44:45], -v[30:31]
	v_fma_f64 v[4:5], v[4:5], v[44:45], v[32:33]
	v_add_f64 v[24:25], v[22:23], -v[6:7]
	v_add_f64 v[28:29], v[14:15], -v[2:3]
	v_mad_u64_u32 v[40:41], null, s2, v57, 0
	v_mad_u64_u32 v[44:45], null, s2, v61, 0
	v_fma_f64 v[30:31], v[34:35], -0.5, v[18:19]
	v_fma_f64 v[32:33], v[36:37], -0.5, v[10:11]
	v_mad_u64_u32 v[34:35], null, s2, v54, 0
	v_add_f64 v[46:47], v[12:13], v[0:1]
	v_add_f64 v[48:49], v[20:21], v[4:5]
	v_mad_u64_u32 v[36:37], null, s2, v55, 0
	v_add_f64 v[10:11], v[10:11], v[14:15]
	v_add_f64 v[14:15], v[18:19], v[22:23]
	v_mad_u64_u32 v[18:19], null, s3, v59, v[43:44]
	v_mov_b32_e32 v43, v18
	v_fma_f64 v[50:51], v[28:29], s[4:5], v[30:31]
	v_fma_f64 v[52:53], v[24:25], s[4:5], v[32:33]
	;; [unrolled: 1-line block ×4, first 2 shown]
	v_mad_u64_u32 v[30:31], null, s3, v54, v[35:36]
	v_mad_u64_u32 v[31:32], null, s3, v55, v[37:38]
	;; [unrolled: 1-line block ×4, first 2 shown]
	v_add_f64 v[55:56], v[8:9], v[12:13]
	v_add_f64 v[57:58], v[20:21], -v[4:5]
	v_add_f64 v[20:21], v[16:17], v[20:21]
	v_add_f64 v[12:13], v[12:13], -v[0:1]
	v_fma_f64 v[8:9], v[46:47], -0.5, v[8:9]
	v_fma_f64 v[16:17], v[48:49], -0.5, v[16:17]
	v_add_f64 v[6:7], v[14:15], v[6:7]
	v_mov_b32_e32 v35, v30
	v_mov_b32_e32 v37, v31
	;; [unrolled: 1-line block ×3, first 2 shown]
	v_mul_f64 v[22:23], v[50:51], s[6:7]
	v_mul_f64 v[46:47], v[52:53], -0.5
	v_mul_f64 v[48:49], v[24:25], s[4:5]
	v_mul_f64 v[59:60], v[28:29], -0.5
	v_mov_b32_e32 v41, v54
	v_add_f64 v[18:19], v[55:56], v[0:1]
	v_lshlrev_b64 v[0:1], 4, v[34:35]
	v_add_f64 v[20:21], v[20:21], v[4:5]
	v_add_f64 v[4:5], v[10:11], v[2:3]
	v_fma_f64 v[30:31], v[57:58], s[6:7], v[8:9]
	v_fma_f64 v[32:33], v[57:58], s[4:5], v[8:9]
	;; [unrolled: 1-line block ×4, first 2 shown]
	v_lshlrev_b64 v[2:3], 4, v[36:37]
	v_lshlrev_b64 v[34:35], 4, v[38:39]
	v_fma_f64 v[16:17], v[24:25], 0.5, v[22:23]
	v_fma_f64 v[22:23], v[28:29], s[6:7], v[46:47]
	v_fma_f64 v[24:25], v[50:51], 0.5, v[48:49]
	v_fma_f64 v[28:29], v[52:53], s[4:5], v[59:60]
	v_mad_u64_u32 v[61:62], null, s3, v61, v[45:46]
	v_lshlrev_b64 v[38:39], 4, v[42:43]
	v_add_co_u32 v42, vcc_lo, v26, v0
	v_add_co_ci_u32_e32 v43, vcc_lo, v27, v1, vcc_lo
	v_lshlrev_b64 v[36:37], 4, v[40:41]
	v_mov_b32_e32 v45, v61
	v_add_f64 v[0:1], v[18:19], v[4:5]
	v_add_f64 v[4:5], v[18:19], -v[4:5]
	v_lshlrev_b64 v[40:41], 4, v[44:45]
	v_add_co_u32 v44, vcc_lo, v26, v2
	v_add_co_ci_u32_e32 v45, vcc_lo, v27, v3, vcc_lo
	v_add_f64 v[2:3], v[20:21], v[6:7]
	v_add_f64 v[8:9], v[30:31], v[16:17]
	;; [unrolled: 1-line block ×5, first 2 shown]
	v_add_f64 v[6:7], v[20:21], -v[6:7]
	v_add_f64 v[16:17], v[30:31], -v[16:17]
	;; [unrolled: 1-line block ×5, first 2 shown]
	v_add_co_u32 v24, vcc_lo, v26, v34
	v_add_co_ci_u32_e32 v25, vcc_lo, v27, v35, vcc_lo
	v_add_co_u32 v28, vcc_lo, v26, v36
	v_add_co_ci_u32_e32 v29, vcc_lo, v27, v37, vcc_lo
	;; [unrolled: 2-line block ×4, first 2 shown]
	global_store_dwordx4 v[42:43], v[0:3], off
	global_store_dwordx4 v[44:45], v[8:11], off
	;; [unrolled: 1-line block ×6, first 2 shown]
.LBB0_22:
	s_endpgm
	.section	.rodata,"a",@progbits
	.p2align	6, 0x0
	.amdhsa_kernel fft_rtc_fwd_len1122_factors_17_11_6_wgs_204_tpt_102_halfLds_dp_op_CI_CI_sbrr_dirReg
		.amdhsa_group_segment_fixed_size 0
		.amdhsa_private_segment_fixed_size 0
		.amdhsa_kernarg_size 104
		.amdhsa_user_sgpr_count 6
		.amdhsa_user_sgpr_private_segment_buffer 1
		.amdhsa_user_sgpr_dispatch_ptr 0
		.amdhsa_user_sgpr_queue_ptr 0
		.amdhsa_user_sgpr_kernarg_segment_ptr 1
		.amdhsa_user_sgpr_dispatch_id 0
		.amdhsa_user_sgpr_flat_scratch_init 0
		.amdhsa_user_sgpr_private_segment_size 0
		.amdhsa_wavefront_size32 1
		.amdhsa_uses_dynamic_stack 0
		.amdhsa_system_sgpr_private_segment_wavefront_offset 0
		.amdhsa_system_sgpr_workgroup_id_x 1
		.amdhsa_system_sgpr_workgroup_id_y 0
		.amdhsa_system_sgpr_workgroup_id_z 0
		.amdhsa_system_sgpr_workgroup_info 0
		.amdhsa_system_vgpr_workitem_id 0
		.amdhsa_next_free_vgpr 253
		.amdhsa_next_free_sgpr 60
		.amdhsa_reserve_vcc 1
		.amdhsa_reserve_flat_scratch 0
		.amdhsa_float_round_mode_32 0
		.amdhsa_float_round_mode_16_64 0
		.amdhsa_float_denorm_mode_32 3
		.amdhsa_float_denorm_mode_16_64 3
		.amdhsa_dx10_clamp 1
		.amdhsa_ieee_mode 1
		.amdhsa_fp16_overflow 0
		.amdhsa_workgroup_processor_mode 1
		.amdhsa_memory_ordered 1
		.amdhsa_forward_progress 0
		.amdhsa_shared_vgpr_count 0
		.amdhsa_exception_fp_ieee_invalid_op 0
		.amdhsa_exception_fp_denorm_src 0
		.amdhsa_exception_fp_ieee_div_zero 0
		.amdhsa_exception_fp_ieee_overflow 0
		.amdhsa_exception_fp_ieee_underflow 0
		.amdhsa_exception_fp_ieee_inexact 0
		.amdhsa_exception_int_div_zero 0
	.end_amdhsa_kernel
	.text
.Lfunc_end0:
	.size	fft_rtc_fwd_len1122_factors_17_11_6_wgs_204_tpt_102_halfLds_dp_op_CI_CI_sbrr_dirReg, .Lfunc_end0-fft_rtc_fwd_len1122_factors_17_11_6_wgs_204_tpt_102_halfLds_dp_op_CI_CI_sbrr_dirReg
                                        ; -- End function
	.section	.AMDGPU.csdata,"",@progbits
; Kernel info:
; codeLenInByte = 14872
; NumSgprs: 62
; NumVgprs: 253
; ScratchSize: 0
; MemoryBound: 1
; FloatMode: 240
; IeeeMode: 1
; LDSByteSize: 0 bytes/workgroup (compile time only)
; SGPRBlocks: 7
; VGPRBlocks: 31
; NumSGPRsForWavesPerEU: 62
; NumVGPRsForWavesPerEU: 253
; Occupancy: 4
; WaveLimiterHint : 1
; COMPUTE_PGM_RSRC2:SCRATCH_EN: 0
; COMPUTE_PGM_RSRC2:USER_SGPR: 6
; COMPUTE_PGM_RSRC2:TRAP_HANDLER: 0
; COMPUTE_PGM_RSRC2:TGID_X_EN: 1
; COMPUTE_PGM_RSRC2:TGID_Y_EN: 0
; COMPUTE_PGM_RSRC2:TGID_Z_EN: 0
; COMPUTE_PGM_RSRC2:TIDIG_COMP_CNT: 0
	.text
	.p2alignl 6, 3214868480
	.fill 48, 4, 3214868480
	.type	__hip_cuid_d88f43abcd99f8fc,@object ; @__hip_cuid_d88f43abcd99f8fc
	.section	.bss,"aw",@nobits
	.globl	__hip_cuid_d88f43abcd99f8fc
__hip_cuid_d88f43abcd99f8fc:
	.byte	0                               ; 0x0
	.size	__hip_cuid_d88f43abcd99f8fc, 1

	.ident	"AMD clang version 19.0.0git (https://github.com/RadeonOpenCompute/llvm-project roc-6.4.0 25133 c7fe45cf4b819c5991fe208aaa96edf142730f1d)"
	.section	".note.GNU-stack","",@progbits
	.addrsig
	.addrsig_sym __hip_cuid_d88f43abcd99f8fc
	.amdgpu_metadata
---
amdhsa.kernels:
  - .args:
      - .actual_access:  read_only
        .address_space:  global
        .offset:         0
        .size:           8
        .value_kind:     global_buffer
      - .offset:         8
        .size:           8
        .value_kind:     by_value
      - .actual_access:  read_only
        .address_space:  global
        .offset:         16
        .size:           8
        .value_kind:     global_buffer
      - .actual_access:  read_only
        .address_space:  global
        .offset:         24
        .size:           8
        .value_kind:     global_buffer
      - .actual_access:  read_only
        .address_space:  global
        .offset:         32
        .size:           8
        .value_kind:     global_buffer
      - .offset:         40
        .size:           8
        .value_kind:     by_value
      - .actual_access:  read_only
        .address_space:  global
        .offset:         48
        .size:           8
        .value_kind:     global_buffer
      - .actual_access:  read_only
        .address_space:  global
        .offset:         56
        .size:           8
        .value_kind:     global_buffer
      - .offset:         64
        .size:           4
        .value_kind:     by_value
      - .actual_access:  read_only
        .address_space:  global
        .offset:         72
        .size:           8
        .value_kind:     global_buffer
      - .actual_access:  read_only
        .address_space:  global
        .offset:         80
        .size:           8
        .value_kind:     global_buffer
      - .actual_access:  read_only
        .address_space:  global
        .offset:         88
        .size:           8
        .value_kind:     global_buffer
      - .actual_access:  write_only
        .address_space:  global
        .offset:         96
        .size:           8
        .value_kind:     global_buffer
    .group_segment_fixed_size: 0
    .kernarg_segment_align: 8
    .kernarg_segment_size: 104
    .language:       OpenCL C
    .language_version:
      - 2
      - 0
    .max_flat_workgroup_size: 204
    .name:           fft_rtc_fwd_len1122_factors_17_11_6_wgs_204_tpt_102_halfLds_dp_op_CI_CI_sbrr_dirReg
    .private_segment_fixed_size: 0
    .sgpr_count:     62
    .sgpr_spill_count: 0
    .symbol:         fft_rtc_fwd_len1122_factors_17_11_6_wgs_204_tpt_102_halfLds_dp_op_CI_CI_sbrr_dirReg.kd
    .uniform_work_group_size: 1
    .uses_dynamic_stack: false
    .vgpr_count:     253
    .vgpr_spill_count: 0
    .wavefront_size: 32
    .workgroup_processor_mode: 1
amdhsa.target:   amdgcn-amd-amdhsa--gfx1030
amdhsa.version:
  - 1
  - 2
...

	.end_amdgpu_metadata
